;; amdgpu-corpus repo=ROCm/rocPRIM kind=compiled arch=gfx1100 opt=O3
	.text
	.amdgcn_target "amdgcn-amd-amdhsa--gfx1100"
	.amdhsa_code_object_version 6
	.section	.text._Z18thread_load_kernelIoEvPT_S1_,"axG",@progbits,_Z18thread_load_kernelIoEvPT_S1_,comdat
	.protected	_Z18thread_load_kernelIoEvPT_S1_ ; -- Begin function _Z18thread_load_kernelIoEvPT_S1_
	.globl	_Z18thread_load_kernelIoEvPT_S1_
	.p2align	8
	.type	_Z18thread_load_kernelIoEvPT_S1_,@function
_Z18thread_load_kernelIoEvPT_S1_:       ; @_Z18thread_load_kernelIoEvPT_S1_
; %bb.0:
	s_load_b128 s[4:7], s[0:1], 0x0
	s_mov_b64 s[2:3], src_private_base
	s_mov_b32 s2, 0
	s_delay_alu instid0(SALU_CYCLE_1)
	v_dual_mov_b32 v4, s3 :: v_dual_mov_b32 v3, s2
	s_waitcnt lgkmcnt(0)
	v_dual_mov_b32 v1, s4 :: v_dual_mov_b32 v2, s5
	flat_store_b64 v[3:4], v[1:2] dlc
	s_waitcnt_vscnt null, 0x0
	flat_load_b64 v[1:2], v[3:4] glc dlc
	s_waitcnt vmcnt(0)
	s_load_b32 s0, s[0:1], 0x1c
	s_waitcnt lgkmcnt(0)
	s_and_b32 s0, s0, 0xffff
	s_delay_alu instid0(SALU_CYCLE_1) | instskip(SKIP_1) | instid1(VALU_DEP_1)
	v_mad_u64_u32 v[3:4], null, s15, s0, v[0:1]
	v_mov_b32_e32 v4, 0
	v_dual_mov_b32 v9, v4 :: v_dual_and_b32 v8, 7, v3
	v_lshlrev_b64 v[4:5], 4, v[3:4]
	s_delay_alu instid0(VALU_DEP_1) | instskip(NEXT) | instid1(VALU_DEP_1)
	v_add_co_u32 v6, s0, v1, v4
	v_add_co_ci_u32_e64 v7, s0, v2, v5, s0
	s_mov_b32 s0, exec_lo
                                        ; implicit-def: $vgpr0_vgpr1
	v_cmpx_lt_i64_e32 2, v[8:9]
	s_xor_b32 s0, exec_lo, s0
	s_cbranch_execz .LBB0_14
; %bb.1:
	s_mov_b32 s1, exec_lo
                                        ; implicit-def: $vgpr0_vgpr1
	v_cmpx_lt_i64_e32 3, v[8:9]
	s_xor_b32 s1, exec_lo, s1
	s_cbranch_execz .LBB0_11
; %bb.2:
	;; [unrolled: 6-line block ×3, first 2 shown]
	s_mov_b32 s3, exec_lo
                                        ; implicit-def: $vgpr0_vgpr1
	v_cmpx_ne_u64_e32 5, v[8:9]
	s_xor_b32 s3, exec_lo, s3
	s_cbranch_execz .LBB0_5
; %bb.4:
	flat_load_b64 v[2:3], v[6:7] offset:8 glc dlc
	s_waitcnt vmcnt(0)
	flat_load_b64 v[0:1], v[6:7] glc dlc
	s_waitcnt vmcnt(0)
                                        ; implicit-def: $vgpr6_vgpr7
.LBB0_5:
	s_and_not1_saveexec_b32 s3, s3
	s_cbranch_execz .LBB0_7
; %bb.6:
	s_waitcnt vmcnt(0) lgkmcnt(0)
	flat_load_b128 v[0:3], v[6:7]
.LBB0_7:
	s_or_b32 exec_lo, exec_lo, s3
                                        ; implicit-def: $vgpr6_vgpr7
.LBB0_8:
	s_and_not1_saveexec_b32 s2, s2
	s_cbranch_execz .LBB0_10
; %bb.9:
	s_waitcnt vmcnt(0) lgkmcnt(0)
	flat_load_b64 v[2:3], v[6:7] offset:8 glc dlc
	s_waitcnt vmcnt(0)
	flat_load_b64 v[0:1], v[6:7] glc dlc
	s_waitcnt vmcnt(0)
.LBB0_10:
	s_or_b32 exec_lo, exec_lo, s2
                                        ; implicit-def: $vgpr6_vgpr7
.LBB0_11:
	s_and_not1_saveexec_b32 s1, s1
	s_cbranch_execz .LBB0_13
; %bb.12:
	s_waitcnt vmcnt(0) lgkmcnt(0)
	flat_load_b128 v[0:3], v[6:7] slc dlc
.LBB0_13:
	s_or_b32 exec_lo, exec_lo, s1
                                        ; implicit-def: $vgpr6_vgpr7
                                        ; implicit-def: $vgpr8_vgpr9
.LBB0_14:
	s_and_not1_saveexec_b32 s0, s0
	s_cbranch_execz .LBB0_24
; %bb.15:
	s_mov_b32 s1, exec_lo
                                        ; implicit-def: $vgpr0_vgpr1
	v_cmpx_lt_i64_e32 0, v[8:9]
	s_xor_b32 s1, exec_lo, s1
	s_cbranch_execz .LBB0_21
; %bb.16:
	s_mov_b32 s2, exec_lo
                                        ; implicit-def: $vgpr0_vgpr1
	v_cmpx_lt_i64_e32 1, v[8:9]
	s_xor_b32 s2, exec_lo, s2
	s_cbranch_execz .LBB0_18
; %bb.17:
	s_waitcnt vmcnt(0) lgkmcnt(0)
	flat_load_b128 v[0:3], v[6:7]
                                        ; implicit-def: $vgpr6_vgpr7
.LBB0_18:
	s_and_not1_saveexec_b32 s2, s2
	s_cbranch_execz .LBB0_20
; %bb.19:
	s_waitcnt vmcnt(0) lgkmcnt(0)
	flat_load_b128 v[0:3], v[6:7]
.LBB0_20:
	s_or_b32 exec_lo, exec_lo, s2
                                        ; implicit-def: $vgpr6_vgpr7
.LBB0_21:
	s_and_not1_saveexec_b32 s1, s1
	s_cbranch_execz .LBB0_23
; %bb.22:
	s_waitcnt vmcnt(0) lgkmcnt(0)
	flat_load_b128 v[0:3], v[6:7]
.LBB0_23:
	s_or_b32 exec_lo, exec_lo, s1
.LBB0_24:
	s_delay_alu instid0(SALU_CYCLE_1)
	s_or_b32 exec_lo, exec_lo, s0
	v_add_co_u32 v4, vcc_lo, s6, v4
	v_add_co_ci_u32_e32 v5, vcc_lo, s7, v5, vcc_lo
	s_waitcnt vmcnt(0) lgkmcnt(0)
	global_store_b128 v[4:5], v[0:3], off
	s_nop 0
	s_sendmsg sendmsg(MSG_DEALLOC_VGPRS)
	s_endpgm
	.section	.rodata,"a",@progbits
	.p2align	6, 0x0
	.amdhsa_kernel _Z18thread_load_kernelIoEvPT_S1_
		.amdhsa_group_segment_fixed_size 0
		.amdhsa_private_segment_fixed_size 16
		.amdhsa_kernarg_size 272
		.amdhsa_user_sgpr_count 15
		.amdhsa_user_sgpr_dispatch_ptr 0
		.amdhsa_user_sgpr_queue_ptr 0
		.amdhsa_user_sgpr_kernarg_segment_ptr 1
		.amdhsa_user_sgpr_dispatch_id 0
		.amdhsa_user_sgpr_private_segment_size 0
		.amdhsa_wavefront_size32 1
		.amdhsa_uses_dynamic_stack 0
		.amdhsa_enable_private_segment 1
		.amdhsa_system_sgpr_workgroup_id_x 1
		.amdhsa_system_sgpr_workgroup_id_y 0
		.amdhsa_system_sgpr_workgroup_id_z 0
		.amdhsa_system_sgpr_workgroup_info 0
		.amdhsa_system_vgpr_workitem_id 0
		.amdhsa_next_free_vgpr 10
		.amdhsa_next_free_sgpr 16
		.amdhsa_reserve_vcc 1
		.amdhsa_float_round_mode_32 0
		.amdhsa_float_round_mode_16_64 0
		.amdhsa_float_denorm_mode_32 3
		.amdhsa_float_denorm_mode_16_64 3
		.amdhsa_dx10_clamp 1
		.amdhsa_ieee_mode 1
		.amdhsa_fp16_overflow 0
		.amdhsa_workgroup_processor_mode 1
		.amdhsa_memory_ordered 1
		.amdhsa_forward_progress 0
		.amdhsa_shared_vgpr_count 0
		.amdhsa_exception_fp_ieee_invalid_op 0
		.amdhsa_exception_fp_denorm_src 0
		.amdhsa_exception_fp_ieee_div_zero 0
		.amdhsa_exception_fp_ieee_overflow 0
		.amdhsa_exception_fp_ieee_underflow 0
		.amdhsa_exception_fp_ieee_inexact 0
		.amdhsa_exception_int_div_zero 0
	.end_amdhsa_kernel
	.section	.text._Z18thread_load_kernelIoEvPT_S1_,"axG",@progbits,_Z18thread_load_kernelIoEvPT_S1_,comdat
.Lfunc_end0:
	.size	_Z18thread_load_kernelIoEvPT_S1_, .Lfunc_end0-_Z18thread_load_kernelIoEvPT_S1_
                                        ; -- End function
	.section	.AMDGPU.csdata,"",@progbits
; Kernel info:
; codeLenInByte = 456
; NumSgprs: 18
; NumVgprs: 10
; ScratchSize: 16
; MemoryBound: 0
; FloatMode: 240
; IeeeMode: 1
; LDSByteSize: 0 bytes/workgroup (compile time only)
; SGPRBlocks: 2
; VGPRBlocks: 1
; NumSGPRsForWavesPerEU: 18
; NumVGPRsForWavesPerEU: 10
; Occupancy: 16
; WaveLimiterHint : 1
; COMPUTE_PGM_RSRC2:SCRATCH_EN: 1
; COMPUTE_PGM_RSRC2:USER_SGPR: 15
; COMPUTE_PGM_RSRC2:TRAP_HANDLER: 0
; COMPUTE_PGM_RSRC2:TGID_X_EN: 1
; COMPUTE_PGM_RSRC2:TGID_Y_EN: 0
; COMPUTE_PGM_RSRC2:TGID_Z_EN: 0
; COMPUTE_PGM_RSRC2:TIDIG_COMP_CNT: 0
	.section	.text._Z18thread_load_kernelIN6common11custom_typeIddLb1EEEEvPT_S4_,"axG",@progbits,_Z18thread_load_kernelIN6common11custom_typeIddLb1EEEEvPT_S4_,comdat
	.protected	_Z18thread_load_kernelIN6common11custom_typeIddLb1EEEEvPT_S4_ ; -- Begin function _Z18thread_load_kernelIN6common11custom_typeIddLb1EEEEvPT_S4_
	.globl	_Z18thread_load_kernelIN6common11custom_typeIddLb1EEEEvPT_S4_
	.p2align	8
	.type	_Z18thread_load_kernelIN6common11custom_typeIddLb1EEEEvPT_S4_,@function
_Z18thread_load_kernelIN6common11custom_typeIddLb1EEEEvPT_S4_: ; @_Z18thread_load_kernelIN6common11custom_typeIddLb1EEEEvPT_S4_
; %bb.0:
	s_load_b128 s[4:7], s[0:1], 0x0
	s_mov_b64 s[2:3], src_private_base
	s_mov_b32 s2, 0
	s_delay_alu instid0(SALU_CYCLE_1)
	v_dual_mov_b32 v4, s3 :: v_dual_mov_b32 v3, s2
	s_waitcnt lgkmcnt(0)
	v_dual_mov_b32 v1, s4 :: v_dual_mov_b32 v2, s5
	flat_store_b64 v[3:4], v[1:2] dlc
	s_waitcnt_vscnt null, 0x0
	flat_load_b64 v[2:3], v[3:4] glc dlc
	s_waitcnt vmcnt(0)
	s_load_b32 s0, s[0:1], 0x1c
	s_waitcnt lgkmcnt(0)
	s_and_b32 s0, s0, 0xffff
	s_delay_alu instid0(SALU_CYCLE_1) | instskip(NEXT) | instid1(VALU_DEP_1)
	v_mad_u64_u32 v[6:7], null, s15, s0, v[0:1]
	v_dual_mov_b32 v7, 0 :: v_dual_and_b32 v4, 7, v6
	s_delay_alu instid0(VALU_DEP_1) | instskip(SKIP_1) | instid1(VALU_DEP_2)
	v_lshlrev_b64 v[0:1], 4, v[6:7]
	v_mov_b32_e32 v5, v7
	v_add_co_u32 v2, s0, v2, v0
	s_delay_alu instid0(VALU_DEP_1) | instskip(SKIP_1) | instid1(VALU_DEP_1)
	v_add_co_ci_u32_e64 v3, s0, v3, v1, s0
	v_add_co_u32 v0, s0, s6, v0
	v_add_co_ci_u32_e64 v1, s0, s7, v1, s0
	s_mov_b32 s0, exec_lo
	v_cmpx_lt_i64_e32 2, v[4:5]
	s_xor_b32 s0, exec_lo, s0
	s_cbranch_execz .LBB1_14
; %bb.1:
	s_mov_b32 s1, exec_lo
	v_cmpx_lt_i64_e32 3, v[4:5]
	s_xor_b32 s1, exec_lo, s1
	s_cbranch_execz .LBB1_11
; %bb.2:
	;; [unrolled: 5-line block ×3, first 2 shown]
	s_mov_b32 s3, exec_lo
	v_cmpx_ne_u64_e32 5, v[4:5]
	s_xor_b32 s3, exec_lo, s3
	s_cbranch_execz .LBB1_5
; %bb.4:
	flat_load_b64 v[4:5], v[2:3] offset:8 glc dlc
	s_waitcnt vmcnt(0)
	flat_load_b64 v[2:3], v[2:3] glc dlc
	s_waitcnt vmcnt(0) lgkmcnt(0)
	global_store_b128 v[0:1], v[2:5], off
                                        ; implicit-def: $vgpr2_vgpr3
                                        ; implicit-def: $vgpr0_vgpr1
.LBB1_5:
	s_and_not1_saveexec_b32 s3, s3
	s_cbranch_execz .LBB1_7
; %bb.6:
	flat_load_b128 v[2:5], v[2:3]
	s_waitcnt vmcnt(0) lgkmcnt(0)
	global_store_b128 v[0:1], v[2:5], off
.LBB1_7:
	s_or_b32 exec_lo, exec_lo, s3
                                        ; implicit-def: $vgpr2_vgpr3
                                        ; implicit-def: $vgpr0_vgpr1
.LBB1_8:
	s_and_not1_saveexec_b32 s2, s2
	s_cbranch_execz .LBB1_10
; %bb.9:
	flat_load_b64 v[4:5], v[2:3] offset:8 glc dlc
	s_waitcnt vmcnt(0)
	flat_load_b64 v[2:3], v[2:3] glc dlc
	s_waitcnt vmcnt(0) lgkmcnt(0)
	global_store_b128 v[0:1], v[2:5], off
.LBB1_10:
	s_or_b32 exec_lo, exec_lo, s2
                                        ; implicit-def: $vgpr2_vgpr3
                                        ; implicit-def: $vgpr0_vgpr1
.LBB1_11:
	s_and_not1_saveexec_b32 s1, s1
	s_cbranch_execz .LBB1_13
; %bb.12:
	flat_load_b128 v[2:5], v[2:3] slc dlc
	s_waitcnt vmcnt(0) lgkmcnt(0)
	global_store_b128 v[0:1], v[2:5], off
.LBB1_13:
	s_or_b32 exec_lo, exec_lo, s1
                                        ; implicit-def: $vgpr2_vgpr3
                                        ; implicit-def: $vgpr0_vgpr1
                                        ; implicit-def: $vgpr4_vgpr5
.LBB1_14:
	s_and_not1_saveexec_b32 s0, s0
	s_cbranch_execz .LBB1_23
; %bb.15:
	s_mov_b32 s0, exec_lo
	v_cmpx_lt_i64_e32 0, v[4:5]
	s_xor_b32 s0, exec_lo, s0
	s_cbranch_execz .LBB1_21
; %bb.16:
	s_mov_b32 s1, exec_lo
	v_cmpx_lt_i64_e32 1, v[4:5]
	s_xor_b32 s1, exec_lo, s1
	s_cbranch_execz .LBB1_18
; %bb.17:
	flat_load_b128 v[2:5], v[2:3]
	s_waitcnt vmcnt(0) lgkmcnt(0)
	global_store_b128 v[0:1], v[2:5], off
                                        ; implicit-def: $vgpr2_vgpr3
                                        ; implicit-def: $vgpr0_vgpr1
.LBB1_18:
	s_and_not1_saveexec_b32 s1, s1
	s_cbranch_execz .LBB1_20
; %bb.19:
	flat_load_b128 v[2:5], v[2:3]
	s_waitcnt vmcnt(0) lgkmcnt(0)
	global_store_b128 v[0:1], v[2:5], off
.LBB1_20:
	s_or_b32 exec_lo, exec_lo, s1
                                        ; implicit-def: $vgpr2_vgpr3
                                        ; implicit-def: $vgpr0_vgpr1
.LBB1_21:
	s_and_not1_saveexec_b32 s0, s0
	s_cbranch_execz .LBB1_23
; %bb.22:
	flat_load_b128 v[2:5], v[2:3]
	s_waitcnt vmcnt(0) lgkmcnt(0)
	global_store_b128 v[0:1], v[2:5], off
.LBB1_23:
	s_nop 0
	s_sendmsg sendmsg(MSG_DEALLOC_VGPRS)
	s_endpgm
	.section	.rodata,"a",@progbits
	.p2align	6, 0x0
	.amdhsa_kernel _Z18thread_load_kernelIN6common11custom_typeIddLb1EEEEvPT_S4_
		.amdhsa_group_segment_fixed_size 0
		.amdhsa_private_segment_fixed_size 16
		.amdhsa_kernarg_size 272
		.amdhsa_user_sgpr_count 15
		.amdhsa_user_sgpr_dispatch_ptr 0
		.amdhsa_user_sgpr_queue_ptr 0
		.amdhsa_user_sgpr_kernarg_segment_ptr 1
		.amdhsa_user_sgpr_dispatch_id 0
		.amdhsa_user_sgpr_private_segment_size 0
		.amdhsa_wavefront_size32 1
		.amdhsa_uses_dynamic_stack 0
		.amdhsa_enable_private_segment 1
		.amdhsa_system_sgpr_workgroup_id_x 1
		.amdhsa_system_sgpr_workgroup_id_y 0
		.amdhsa_system_sgpr_workgroup_id_z 0
		.amdhsa_system_sgpr_workgroup_info 0
		.amdhsa_system_vgpr_workitem_id 0
		.amdhsa_next_free_vgpr 8
		.amdhsa_next_free_sgpr 16
		.amdhsa_reserve_vcc 0
		.amdhsa_float_round_mode_32 0
		.amdhsa_float_round_mode_16_64 0
		.amdhsa_float_denorm_mode_32 3
		.amdhsa_float_denorm_mode_16_64 3
		.amdhsa_dx10_clamp 1
		.amdhsa_ieee_mode 1
		.amdhsa_fp16_overflow 0
		.amdhsa_workgroup_processor_mode 1
		.amdhsa_memory_ordered 1
		.amdhsa_forward_progress 0
		.amdhsa_shared_vgpr_count 0
		.amdhsa_exception_fp_ieee_invalid_op 0
		.amdhsa_exception_fp_denorm_src 0
		.amdhsa_exception_fp_ieee_div_zero 0
		.amdhsa_exception_fp_ieee_overflow 0
		.amdhsa_exception_fp_ieee_underflow 0
		.amdhsa_exception_fp_ieee_inexact 0
		.amdhsa_exception_int_div_zero 0
	.end_amdhsa_kernel
	.section	.text._Z18thread_load_kernelIN6common11custom_typeIddLb1EEEEvPT_S4_,"axG",@progbits,_Z18thread_load_kernelIN6common11custom_typeIddLb1EEEEvPT_S4_,comdat
.Lfunc_end1:
	.size	_Z18thread_load_kernelIN6common11custom_typeIddLb1EEEEvPT_S4_, .Lfunc_end1-_Z18thread_load_kernelIN6common11custom_typeIddLb1EEEEvPT_S4_
                                        ; -- End function
	.section	.AMDGPU.csdata,"",@progbits
; Kernel info:
; codeLenInByte = 492
; NumSgprs: 16
; NumVgprs: 8
; ScratchSize: 16
; MemoryBound: 1
; FloatMode: 240
; IeeeMode: 1
; LDSByteSize: 0 bytes/workgroup (compile time only)
; SGPRBlocks: 1
; VGPRBlocks: 0
; NumSGPRsForWavesPerEU: 16
; NumVGPRsForWavesPerEU: 8
; Occupancy: 16
; WaveLimiterHint : 1
; COMPUTE_PGM_RSRC2:SCRATCH_EN: 1
; COMPUTE_PGM_RSRC2:USER_SGPR: 15
; COMPUTE_PGM_RSRC2:TRAP_HANDLER: 0
; COMPUTE_PGM_RSRC2:TGID_X_EN: 1
; COMPUTE_PGM_RSRC2:TGID_Y_EN: 0
; COMPUTE_PGM_RSRC2:TGID_Z_EN: 0
; COMPUTE_PGM_RSRC2:TIDIG_COMP_CNT: 0
	.section	.text._Z18thread_load_kernelIN6common11custom_typeImmLb1EEEEvPT_S4_,"axG",@progbits,_Z18thread_load_kernelIN6common11custom_typeImmLb1EEEEvPT_S4_,comdat
	.protected	_Z18thread_load_kernelIN6common11custom_typeImmLb1EEEEvPT_S4_ ; -- Begin function _Z18thread_load_kernelIN6common11custom_typeImmLb1EEEEvPT_S4_
	.globl	_Z18thread_load_kernelIN6common11custom_typeImmLb1EEEEvPT_S4_
	.p2align	8
	.type	_Z18thread_load_kernelIN6common11custom_typeImmLb1EEEEvPT_S4_,@function
_Z18thread_load_kernelIN6common11custom_typeImmLb1EEEEvPT_S4_: ; @_Z18thread_load_kernelIN6common11custom_typeImmLb1EEEEvPT_S4_
; %bb.0:
	s_load_b128 s[4:7], s[0:1], 0x0
	s_mov_b64 s[2:3], src_private_base
	s_mov_b32 s2, 0
	s_delay_alu instid0(SALU_CYCLE_1)
	v_dual_mov_b32 v4, s3 :: v_dual_mov_b32 v3, s2
	s_waitcnt lgkmcnt(0)
	v_dual_mov_b32 v1, s4 :: v_dual_mov_b32 v2, s5
	flat_store_b64 v[3:4], v[1:2] dlc
	s_waitcnt_vscnt null, 0x0
	flat_load_b64 v[1:2], v[3:4] glc dlc
	s_waitcnt vmcnt(0)
	s_load_b32 s0, s[0:1], 0x1c
	s_waitcnt lgkmcnt(0)
	s_and_b32 s0, s0, 0xffff
	s_delay_alu instid0(SALU_CYCLE_1) | instskip(SKIP_1) | instid1(VALU_DEP_1)
	v_mad_u64_u32 v[3:4], null, s15, s0, v[0:1]
	v_mov_b32_e32 v4, 0
	v_dual_mov_b32 v9, v4 :: v_dual_and_b32 v8, 7, v3
	v_lshlrev_b64 v[4:5], 4, v[3:4]
	s_delay_alu instid0(VALU_DEP_1) | instskip(NEXT) | instid1(VALU_DEP_1)
	v_add_co_u32 v6, s0, v1, v4
	v_add_co_ci_u32_e64 v7, s0, v2, v5, s0
	s_mov_b32 s0, exec_lo
                                        ; implicit-def: $vgpr2_vgpr3
	v_cmpx_lt_i64_e32 2, v[8:9]
	s_xor_b32 s0, exec_lo, s0
	s_cbranch_execz .LBB2_14
; %bb.1:
	s_mov_b32 s1, exec_lo
                                        ; implicit-def: $vgpr2_vgpr3
	v_cmpx_lt_i64_e32 3, v[8:9]
	s_xor_b32 s1, exec_lo, s1
	s_cbranch_execz .LBB2_11
; %bb.2:
	;; [unrolled: 6-line block ×3, first 2 shown]
	s_mov_b32 s3, exec_lo
                                        ; implicit-def: $vgpr2_vgpr3
	v_cmpx_ne_u64_e32 5, v[8:9]
	s_xor_b32 s3, exec_lo, s3
	s_cbranch_execz .LBB2_5
; %bb.4:
	flat_load_b64 v[2:3], v[6:7] offset:8 glc dlc
	s_waitcnt vmcnt(0)
	flat_load_b64 v[0:1], v[6:7] glc dlc
	s_waitcnt vmcnt(0)
                                        ; implicit-def: $vgpr6_vgpr7
.LBB2_5:
	s_and_not1_saveexec_b32 s3, s3
	s_cbranch_execz .LBB2_7
; %bb.6:
	s_waitcnt vmcnt(0) lgkmcnt(0)
	flat_load_b128 v[0:3], v[6:7]
.LBB2_7:
	s_or_b32 exec_lo, exec_lo, s3
                                        ; implicit-def: $vgpr6_vgpr7
.LBB2_8:
	s_and_not1_saveexec_b32 s2, s2
	s_cbranch_execz .LBB2_10
; %bb.9:
	s_waitcnt vmcnt(0) lgkmcnt(0)
	flat_load_b64 v[2:3], v[6:7] offset:8 glc dlc
	s_waitcnt vmcnt(0)
	flat_load_b64 v[0:1], v[6:7] glc dlc
	s_waitcnt vmcnt(0)
.LBB2_10:
	s_or_b32 exec_lo, exec_lo, s2
                                        ; implicit-def: $vgpr6_vgpr7
.LBB2_11:
	s_and_not1_saveexec_b32 s1, s1
	s_cbranch_execz .LBB2_13
; %bb.12:
	s_waitcnt vmcnt(0) lgkmcnt(0)
	flat_load_b128 v[0:3], v[6:7] slc dlc
.LBB2_13:
	s_or_b32 exec_lo, exec_lo, s1
                                        ; implicit-def: $vgpr6_vgpr7
                                        ; implicit-def: $vgpr8_vgpr9
.LBB2_14:
	s_and_not1_saveexec_b32 s0, s0
	s_cbranch_execz .LBB2_24
; %bb.15:
	s_mov_b32 s1, exec_lo
                                        ; implicit-def: $vgpr2_vgpr3
	v_cmpx_lt_i64_e32 0, v[8:9]
	s_xor_b32 s1, exec_lo, s1
	s_cbranch_execz .LBB2_21
; %bb.16:
	s_mov_b32 s2, exec_lo
                                        ; implicit-def: $vgpr2_vgpr3
	v_cmpx_lt_i64_e32 1, v[8:9]
	s_xor_b32 s2, exec_lo, s2
	s_cbranch_execz .LBB2_18
; %bb.17:
	s_waitcnt vmcnt(0) lgkmcnt(0)
	flat_load_b128 v[0:3], v[6:7]
                                        ; implicit-def: $vgpr6_vgpr7
.LBB2_18:
	s_and_not1_saveexec_b32 s2, s2
	s_cbranch_execz .LBB2_20
; %bb.19:
	s_waitcnt vmcnt(0) lgkmcnt(0)
	flat_load_b128 v[0:3], v[6:7]
.LBB2_20:
	s_or_b32 exec_lo, exec_lo, s2
                                        ; implicit-def: $vgpr6_vgpr7
.LBB2_21:
	s_and_not1_saveexec_b32 s1, s1
	s_cbranch_execz .LBB2_23
; %bb.22:
	s_waitcnt vmcnt(0) lgkmcnt(0)
	flat_load_b128 v[0:3], v[6:7]
.LBB2_23:
	s_or_b32 exec_lo, exec_lo, s1
.LBB2_24:
	s_delay_alu instid0(SALU_CYCLE_1)
	s_or_b32 exec_lo, exec_lo, s0
	v_add_co_u32 v4, vcc_lo, s6, v4
	v_add_co_ci_u32_e32 v5, vcc_lo, s7, v5, vcc_lo
	s_waitcnt vmcnt(0) lgkmcnt(0)
	global_store_b128 v[4:5], v[0:3], off
	s_nop 0
	s_sendmsg sendmsg(MSG_DEALLOC_VGPRS)
	s_endpgm
	.section	.rodata,"a",@progbits
	.p2align	6, 0x0
	.amdhsa_kernel _Z18thread_load_kernelIN6common11custom_typeImmLb1EEEEvPT_S4_
		.amdhsa_group_segment_fixed_size 0
		.amdhsa_private_segment_fixed_size 16
		.amdhsa_kernarg_size 272
		.amdhsa_user_sgpr_count 15
		.amdhsa_user_sgpr_dispatch_ptr 0
		.amdhsa_user_sgpr_queue_ptr 0
		.amdhsa_user_sgpr_kernarg_segment_ptr 1
		.amdhsa_user_sgpr_dispatch_id 0
		.amdhsa_user_sgpr_private_segment_size 0
		.amdhsa_wavefront_size32 1
		.amdhsa_uses_dynamic_stack 0
		.amdhsa_enable_private_segment 1
		.amdhsa_system_sgpr_workgroup_id_x 1
		.amdhsa_system_sgpr_workgroup_id_y 0
		.amdhsa_system_sgpr_workgroup_id_z 0
		.amdhsa_system_sgpr_workgroup_info 0
		.amdhsa_system_vgpr_workitem_id 0
		.amdhsa_next_free_vgpr 10
		.amdhsa_next_free_sgpr 16
		.amdhsa_reserve_vcc 1
		.amdhsa_float_round_mode_32 0
		.amdhsa_float_round_mode_16_64 0
		.amdhsa_float_denorm_mode_32 3
		.amdhsa_float_denorm_mode_16_64 3
		.amdhsa_dx10_clamp 1
		.amdhsa_ieee_mode 1
		.amdhsa_fp16_overflow 0
		.amdhsa_workgroup_processor_mode 1
		.amdhsa_memory_ordered 1
		.amdhsa_forward_progress 0
		.amdhsa_shared_vgpr_count 0
		.amdhsa_exception_fp_ieee_invalid_op 0
		.amdhsa_exception_fp_denorm_src 0
		.amdhsa_exception_fp_ieee_div_zero 0
		.amdhsa_exception_fp_ieee_overflow 0
		.amdhsa_exception_fp_ieee_underflow 0
		.amdhsa_exception_fp_ieee_inexact 0
		.amdhsa_exception_int_div_zero 0
	.end_amdhsa_kernel
	.section	.text._Z18thread_load_kernelIN6common11custom_typeImmLb1EEEEvPT_S4_,"axG",@progbits,_Z18thread_load_kernelIN6common11custom_typeImmLb1EEEEvPT_S4_,comdat
.Lfunc_end2:
	.size	_Z18thread_load_kernelIN6common11custom_typeImmLb1EEEEvPT_S4_, .Lfunc_end2-_Z18thread_load_kernelIN6common11custom_typeImmLb1EEEEvPT_S4_
                                        ; -- End function
	.section	.AMDGPU.csdata,"",@progbits
; Kernel info:
; codeLenInByte = 456
; NumSgprs: 18
; NumVgprs: 10
; ScratchSize: 16
; MemoryBound: 1
; FloatMode: 240
; IeeeMode: 1
; LDSByteSize: 0 bytes/workgroup (compile time only)
; SGPRBlocks: 2
; VGPRBlocks: 1
; NumSGPRsForWavesPerEU: 18
; NumVGPRsForWavesPerEU: 10
; Occupancy: 16
; WaveLimiterHint : 1
; COMPUTE_PGM_RSRC2:SCRATCH_EN: 1
; COMPUTE_PGM_RSRC2:USER_SGPR: 15
; COMPUTE_PGM_RSRC2:TRAP_HANDLER: 0
; COMPUTE_PGM_RSRC2:TGID_X_EN: 1
; COMPUTE_PGM_RSRC2:TGID_Y_EN: 0
; COMPUTE_PGM_RSRC2:TGID_Z_EN: 0
; COMPUTE_PGM_RSRC2:TIDIG_COMP_CNT: 0
	.section	.text._Z18thread_load_kernelIdEvPT_S1_,"axG",@progbits,_Z18thread_load_kernelIdEvPT_S1_,comdat
	.protected	_Z18thread_load_kernelIdEvPT_S1_ ; -- Begin function _Z18thread_load_kernelIdEvPT_S1_
	.globl	_Z18thread_load_kernelIdEvPT_S1_
	.p2align	8
	.type	_Z18thread_load_kernelIdEvPT_S1_,@function
_Z18thread_load_kernelIdEvPT_S1_:       ; @_Z18thread_load_kernelIdEvPT_S1_
; %bb.0:
	s_load_b128 s[4:7], s[0:1], 0x0
	s_mov_b64 s[2:3], src_private_base
	s_mov_b32 s2, 0
	s_delay_alu instid0(SALU_CYCLE_1)
	v_dual_mov_b32 v4, s3 :: v_dual_mov_b32 v3, s2
	s_waitcnt lgkmcnt(0)
	v_dual_mov_b32 v1, s4 :: v_dual_mov_b32 v2, s5
	flat_store_b64 v[3:4], v[1:2] dlc
	s_waitcnt_vscnt null, 0x0
	flat_load_b64 v[1:2], v[3:4] glc dlc
	s_waitcnt vmcnt(0)
	s_load_b32 s0, s[0:1], 0x1c
	s_waitcnt lgkmcnt(0)
	s_and_b32 s0, s0, 0xffff
	s_delay_alu instid0(SALU_CYCLE_1) | instskip(NEXT) | instid1(VALU_DEP_1)
	v_mad_u64_u32 v[6:7], null, s15, s0, v[0:1]
	v_dual_mov_b32 v7, 0 :: v_dual_and_b32 v4, 7, v6
	s_delay_alu instid0(VALU_DEP_1) | instskip(SKIP_1) | instid1(VALU_DEP_1)
	v_mov_b32_e32 v5, v7
	v_lshlrev_b64 v[6:7], 3, v[6:7]
	v_add_co_u32 v0, s0, v1, v6
	s_delay_alu instid0(VALU_DEP_1) | instskip(SKIP_1) | instid1(VALU_DEP_1)
	v_add_co_ci_u32_e64 v1, s0, v2, v7, s0
	v_add_co_u32 v2, s0, s6, v6
	v_add_co_ci_u32_e64 v3, s0, s7, v7, s0
	s_mov_b32 s0, exec_lo
	v_cmpx_lt_i64_e32 2, v[4:5]
	s_xor_b32 s0, exec_lo, s0
	s_cbranch_execz .LBB3_14
; %bb.1:
	s_mov_b32 s1, exec_lo
	v_cmpx_lt_i64_e32 3, v[4:5]
	s_xor_b32 s1, exec_lo, s1
	s_cbranch_execz .LBB3_11
; %bb.2:
	;; [unrolled: 5-line block ×3, first 2 shown]
	s_mov_b32 s3, exec_lo
	v_cmpx_ne_u64_e32 5, v[4:5]
	s_xor_b32 s3, exec_lo, s3
	s_cbranch_execz .LBB3_5
; %bb.4:
	flat_load_b64 v[0:1], v[0:1] glc dlc
	s_waitcnt vmcnt(0) lgkmcnt(0)
	global_store_b64 v[2:3], v[0:1], off
                                        ; implicit-def: $vgpr0_vgpr1
                                        ; implicit-def: $vgpr2_vgpr3
.LBB3_5:
	s_and_not1_saveexec_b32 s3, s3
	s_cbranch_execz .LBB3_7
; %bb.6:
	flat_load_b64 v[0:1], v[0:1]
	s_waitcnt vmcnt(0) lgkmcnt(0)
	global_store_b64 v[2:3], v[0:1], off
.LBB3_7:
	s_or_b32 exec_lo, exec_lo, s3
                                        ; implicit-def: $vgpr0_vgpr1
                                        ; implicit-def: $vgpr2_vgpr3
.LBB3_8:
	s_and_not1_saveexec_b32 s2, s2
	s_cbranch_execz .LBB3_10
; %bb.9:
	flat_load_b64 v[0:1], v[0:1] glc dlc
	s_waitcnt vmcnt(0) lgkmcnt(0)
	global_store_b64 v[2:3], v[0:1], off
.LBB3_10:
	s_or_b32 exec_lo, exec_lo, s2
                                        ; implicit-def: $vgpr0_vgpr1
                                        ; implicit-def: $vgpr2_vgpr3
.LBB3_11:
	s_and_not1_saveexec_b32 s1, s1
	s_cbranch_execz .LBB3_13
; %bb.12:
	flat_load_b64 v[0:1], v[0:1] slc dlc
	s_waitcnt vmcnt(0) lgkmcnt(0)
	global_store_b64 v[2:3], v[0:1], off
.LBB3_13:
	s_or_b32 exec_lo, exec_lo, s1
                                        ; implicit-def: $vgpr0_vgpr1
                                        ; implicit-def: $vgpr2_vgpr3
                                        ; implicit-def: $vgpr4_vgpr5
.LBB3_14:
	s_and_not1_saveexec_b32 s0, s0
	s_cbranch_execz .LBB3_23
; %bb.15:
	s_mov_b32 s0, exec_lo
	v_cmpx_lt_i64_e32 0, v[4:5]
	s_xor_b32 s0, exec_lo, s0
	s_cbranch_execz .LBB3_21
; %bb.16:
	s_mov_b32 s1, exec_lo
	v_cmpx_lt_i64_e32 1, v[4:5]
	s_xor_b32 s1, exec_lo, s1
	s_cbranch_execz .LBB3_18
; %bb.17:
	;;#ASMSTART
	flat_load_dwordx2 v[0:1], v[0:1] glc slc
	s_waitcnt(0)
	;;#ASMEND
	global_store_b64 v[2:3], v[0:1], off
                                        ; implicit-def: $vgpr0_vgpr1
                                        ; implicit-def: $vgpr2_vgpr3
.LBB3_18:
	s_and_not1_saveexec_b32 s1, s1
	s_cbranch_execz .LBB3_20
; %bb.19:
	flat_load_b64 v[0:1], v[0:1]
	s_waitcnt vmcnt(0) lgkmcnt(0)
	global_store_b64 v[2:3], v[0:1], off
.LBB3_20:
	s_or_b32 exec_lo, exec_lo, s1
                                        ; implicit-def: $vgpr0_vgpr1
                                        ; implicit-def: $vgpr2_vgpr3
.LBB3_21:
	s_and_not1_saveexec_b32 s0, s0
	s_cbranch_execz .LBB3_23
; %bb.22:
	flat_load_b64 v[0:1], v[0:1]
	s_waitcnt vmcnt(0) lgkmcnt(0)
	global_store_b64 v[2:3], v[0:1], off
.LBB3_23:
	s_nop 0
	s_sendmsg sendmsg(MSG_DEALLOC_VGPRS)
	s_endpgm
	.section	.rodata,"a",@progbits
	.p2align	6, 0x0
	.amdhsa_kernel _Z18thread_load_kernelIdEvPT_S1_
		.amdhsa_group_segment_fixed_size 0
		.amdhsa_private_segment_fixed_size 16
		.amdhsa_kernarg_size 272
		.amdhsa_user_sgpr_count 15
		.amdhsa_user_sgpr_dispatch_ptr 0
		.amdhsa_user_sgpr_queue_ptr 0
		.amdhsa_user_sgpr_kernarg_segment_ptr 1
		.amdhsa_user_sgpr_dispatch_id 0
		.amdhsa_user_sgpr_private_segment_size 0
		.amdhsa_wavefront_size32 1
		.amdhsa_uses_dynamic_stack 0
		.amdhsa_enable_private_segment 1
		.amdhsa_system_sgpr_workgroup_id_x 1
		.amdhsa_system_sgpr_workgroup_id_y 0
		.amdhsa_system_sgpr_workgroup_id_z 0
		.amdhsa_system_sgpr_workgroup_info 0
		.amdhsa_system_vgpr_workitem_id 0
		.amdhsa_next_free_vgpr 8
		.amdhsa_next_free_sgpr 16
		.amdhsa_reserve_vcc 0
		.amdhsa_float_round_mode_32 0
		.amdhsa_float_round_mode_16_64 0
		.amdhsa_float_denorm_mode_32 3
		.amdhsa_float_denorm_mode_16_64 3
		.amdhsa_dx10_clamp 1
		.amdhsa_ieee_mode 1
		.amdhsa_fp16_overflow 0
		.amdhsa_workgroup_processor_mode 1
		.amdhsa_memory_ordered 1
		.amdhsa_forward_progress 0
		.amdhsa_shared_vgpr_count 0
		.amdhsa_exception_fp_ieee_invalid_op 0
		.amdhsa_exception_fp_denorm_src 0
		.amdhsa_exception_fp_ieee_div_zero 0
		.amdhsa_exception_fp_ieee_overflow 0
		.amdhsa_exception_fp_ieee_underflow 0
		.amdhsa_exception_fp_ieee_inexact 0
		.amdhsa_exception_int_div_zero 0
	.end_amdhsa_kernel
	.section	.text._Z18thread_load_kernelIdEvPT_S1_,"axG",@progbits,_Z18thread_load_kernelIdEvPT_S1_,comdat
.Lfunc_end3:
	.size	_Z18thread_load_kernelIdEvPT_S1_, .Lfunc_end3-_Z18thread_load_kernelIdEvPT_S1_
                                        ; -- End function
	.section	.AMDGPU.csdata,"",@progbits
; Kernel info:
; codeLenInByte = 496
; NumSgprs: 16
; NumVgprs: 8
; ScratchSize: 16
; MemoryBound: 1
; FloatMode: 240
; IeeeMode: 1
; LDSByteSize: 0 bytes/workgroup (compile time only)
; SGPRBlocks: 1
; VGPRBlocks: 0
; NumSGPRsForWavesPerEU: 16
; NumVGPRsForWavesPerEU: 8
; Occupancy: 16
; WaveLimiterHint : 1
; COMPUTE_PGM_RSRC2:SCRATCH_EN: 1
; COMPUTE_PGM_RSRC2:USER_SGPR: 15
; COMPUTE_PGM_RSRC2:TRAP_HANDLER: 0
; COMPUTE_PGM_RSRC2:TGID_X_EN: 1
; COMPUTE_PGM_RSRC2:TGID_Y_EN: 0
; COMPUTE_PGM_RSRC2:TGID_Z_EN: 0
; COMPUTE_PGM_RSRC2:TIDIG_COMP_CNT: 0
	.section	.text._Z18thread_load_kernelIfEvPT_S1_,"axG",@progbits,_Z18thread_load_kernelIfEvPT_S1_,comdat
	.protected	_Z18thread_load_kernelIfEvPT_S1_ ; -- Begin function _Z18thread_load_kernelIfEvPT_S1_
	.globl	_Z18thread_load_kernelIfEvPT_S1_
	.p2align	8
	.type	_Z18thread_load_kernelIfEvPT_S1_,@function
_Z18thread_load_kernelIfEvPT_S1_:       ; @_Z18thread_load_kernelIfEvPT_S1_
; %bb.0:
	s_load_b128 s[4:7], s[0:1], 0x0
	s_mov_b64 s[2:3], src_private_base
	s_mov_b32 s2, 0
	s_delay_alu instid0(SALU_CYCLE_1)
	v_dual_mov_b32 v4, s3 :: v_dual_mov_b32 v3, s2
	s_waitcnt lgkmcnt(0)
	v_dual_mov_b32 v1, s4 :: v_dual_mov_b32 v2, s5
	flat_store_b64 v[3:4], v[1:2] dlc
	s_waitcnt_vscnt null, 0x0
	flat_load_b64 v[1:2], v[3:4] glc dlc
	s_waitcnt vmcnt(0)
	s_load_b32 s0, s[0:1], 0x1c
	s_waitcnt lgkmcnt(0)
	s_and_b32 s0, s0, 0xffff
	s_delay_alu instid0(SALU_CYCLE_1) | instskip(NEXT) | instid1(VALU_DEP_1)
	v_mad_u64_u32 v[6:7], null, s15, s0, v[0:1]
	v_dual_mov_b32 v7, 0 :: v_dual_and_b32 v4, 7, v6
	s_delay_alu instid0(VALU_DEP_1) | instskip(SKIP_1) | instid1(VALU_DEP_1)
	v_mov_b32_e32 v5, v7
	v_lshlrev_b64 v[6:7], 2, v[6:7]
	v_add_co_u32 v0, s0, v1, v6
	s_delay_alu instid0(VALU_DEP_1) | instskip(SKIP_1) | instid1(VALU_DEP_1)
	v_add_co_ci_u32_e64 v1, s0, v2, v7, s0
	v_add_co_u32 v2, s0, s6, v6
	v_add_co_ci_u32_e64 v3, s0, s7, v7, s0
	s_mov_b32 s0, exec_lo
	v_cmpx_lt_i64_e32 2, v[4:5]
	s_xor_b32 s0, exec_lo, s0
	s_cbranch_execz .LBB4_14
; %bb.1:
	s_mov_b32 s1, exec_lo
	v_cmpx_lt_i64_e32 3, v[4:5]
	s_xor_b32 s1, exec_lo, s1
	s_cbranch_execz .LBB4_11
; %bb.2:
	s_mov_b32 s2, exec_lo
	v_cmpx_lt_i64_e32 4, v[4:5]
	s_xor_b32 s2, exec_lo, s2
	s_cbranch_execz .LBB4_8
; %bb.3:
	s_mov_b32 s3, exec_lo
	v_cmpx_ne_u64_e32 5, v[4:5]
	s_xor_b32 s3, exec_lo, s3
	s_cbranch_execz .LBB4_5
; %bb.4:
	flat_load_b32 v0, v[0:1] glc dlc
	s_waitcnt vmcnt(0) lgkmcnt(0)
	global_store_b32 v[2:3], v0, off
                                        ; implicit-def: $vgpr0_vgpr1
                                        ; implicit-def: $vgpr2_vgpr3
.LBB4_5:
	s_and_not1_saveexec_b32 s3, s3
	s_cbranch_execz .LBB4_7
; %bb.6:
	flat_load_b32 v0, v[0:1]
	s_waitcnt vmcnt(0) lgkmcnt(0)
	global_store_b32 v[2:3], v0, off
.LBB4_7:
	s_or_b32 exec_lo, exec_lo, s3
                                        ; implicit-def: $vgpr0_vgpr1
                                        ; implicit-def: $vgpr2_vgpr3
.LBB4_8:
	s_and_not1_saveexec_b32 s2, s2
	s_cbranch_execz .LBB4_10
; %bb.9:
	flat_load_b32 v0, v[0:1] glc dlc
	s_waitcnt vmcnt(0) lgkmcnt(0)
	global_store_b32 v[2:3], v0, off
.LBB4_10:
	s_or_b32 exec_lo, exec_lo, s2
                                        ; implicit-def: $vgpr0_vgpr1
                                        ; implicit-def: $vgpr2_vgpr3
.LBB4_11:
	s_and_not1_saveexec_b32 s1, s1
	s_cbranch_execz .LBB4_13
; %bb.12:
	flat_load_b32 v0, v[0:1] slc dlc
	s_waitcnt vmcnt(0) lgkmcnt(0)
	global_store_b32 v[2:3], v0, off
.LBB4_13:
	s_or_b32 exec_lo, exec_lo, s1
                                        ; implicit-def: $vgpr0_vgpr1
                                        ; implicit-def: $vgpr2_vgpr3
                                        ; implicit-def: $vgpr4_vgpr5
.LBB4_14:
	s_and_not1_saveexec_b32 s0, s0
	s_cbranch_execz .LBB4_23
; %bb.15:
	s_mov_b32 s0, exec_lo
	v_cmpx_lt_i64_e32 0, v[4:5]
	s_xor_b32 s0, exec_lo, s0
	s_cbranch_execz .LBB4_21
; %bb.16:
	s_mov_b32 s1, exec_lo
	v_cmpx_lt_i64_e32 1, v[4:5]
	s_xor_b32 s1, exec_lo, s1
	s_cbranch_execz .LBB4_18
; %bb.17:
	;;#ASMSTART
	flat_load_dword v0, v[0:1] glc slc
	s_waitcnt(0)
	;;#ASMEND
	global_store_b32 v[2:3], v0, off
                                        ; implicit-def: $vgpr0_vgpr1
                                        ; implicit-def: $vgpr2_vgpr3
.LBB4_18:
	s_and_not1_saveexec_b32 s1, s1
	s_cbranch_execz .LBB4_20
; %bb.19:
	flat_load_b32 v0, v[0:1]
	s_waitcnt vmcnt(0) lgkmcnt(0)
	global_store_b32 v[2:3], v0, off
.LBB4_20:
	s_or_b32 exec_lo, exec_lo, s1
                                        ; implicit-def: $vgpr0_vgpr1
                                        ; implicit-def: $vgpr2_vgpr3
.LBB4_21:
	s_and_not1_saveexec_b32 s0, s0
	s_cbranch_execz .LBB4_23
; %bb.22:
	flat_load_b32 v0, v[0:1]
	s_waitcnt vmcnt(0) lgkmcnt(0)
	global_store_b32 v[2:3], v0, off
.LBB4_23:
	s_nop 0
	s_sendmsg sendmsg(MSG_DEALLOC_VGPRS)
	s_endpgm
	.section	.rodata,"a",@progbits
	.p2align	6, 0x0
	.amdhsa_kernel _Z18thread_load_kernelIfEvPT_S1_
		.amdhsa_group_segment_fixed_size 0
		.amdhsa_private_segment_fixed_size 16
		.amdhsa_kernarg_size 272
		.amdhsa_user_sgpr_count 15
		.amdhsa_user_sgpr_dispatch_ptr 0
		.amdhsa_user_sgpr_queue_ptr 0
		.amdhsa_user_sgpr_kernarg_segment_ptr 1
		.amdhsa_user_sgpr_dispatch_id 0
		.amdhsa_user_sgpr_private_segment_size 0
		.amdhsa_wavefront_size32 1
		.amdhsa_uses_dynamic_stack 0
		.amdhsa_enable_private_segment 1
		.amdhsa_system_sgpr_workgroup_id_x 1
		.amdhsa_system_sgpr_workgroup_id_y 0
		.amdhsa_system_sgpr_workgroup_id_z 0
		.amdhsa_system_sgpr_workgroup_info 0
		.amdhsa_system_vgpr_workitem_id 0
		.amdhsa_next_free_vgpr 8
		.amdhsa_next_free_sgpr 16
		.amdhsa_reserve_vcc 0
		.amdhsa_float_round_mode_32 0
		.amdhsa_float_round_mode_16_64 0
		.amdhsa_float_denorm_mode_32 3
		.amdhsa_float_denorm_mode_16_64 3
		.amdhsa_dx10_clamp 1
		.amdhsa_ieee_mode 1
		.amdhsa_fp16_overflow 0
		.amdhsa_workgroup_processor_mode 1
		.amdhsa_memory_ordered 1
		.amdhsa_forward_progress 0
		.amdhsa_shared_vgpr_count 0
		.amdhsa_exception_fp_ieee_invalid_op 0
		.amdhsa_exception_fp_denorm_src 0
		.amdhsa_exception_fp_ieee_div_zero 0
		.amdhsa_exception_fp_ieee_overflow 0
		.amdhsa_exception_fp_ieee_underflow 0
		.amdhsa_exception_fp_ieee_inexact 0
		.amdhsa_exception_int_div_zero 0
	.end_amdhsa_kernel
	.section	.text._Z18thread_load_kernelIfEvPT_S1_,"axG",@progbits,_Z18thread_load_kernelIfEvPT_S1_,comdat
.Lfunc_end4:
	.size	_Z18thread_load_kernelIfEvPT_S1_, .Lfunc_end4-_Z18thread_load_kernelIfEvPT_S1_
                                        ; -- End function
	.section	.AMDGPU.csdata,"",@progbits
; Kernel info:
; codeLenInByte = 496
; NumSgprs: 16
; NumVgprs: 8
; ScratchSize: 16
; MemoryBound: 0
; FloatMode: 240
; IeeeMode: 1
; LDSByteSize: 0 bytes/workgroup (compile time only)
; SGPRBlocks: 1
; VGPRBlocks: 0
; NumSGPRsForWavesPerEU: 16
; NumVGPRsForWavesPerEU: 8
; Occupancy: 16
; WaveLimiterHint : 1
; COMPUTE_PGM_RSRC2:SCRATCH_EN: 1
; COMPUTE_PGM_RSRC2:USER_SGPR: 15
; COMPUTE_PGM_RSRC2:TRAP_HANDLER: 0
; COMPUTE_PGM_RSRC2:TGID_X_EN: 1
; COMPUTE_PGM_RSRC2:TGID_Y_EN: 0
; COMPUTE_PGM_RSRC2:TGID_Z_EN: 0
; COMPUTE_PGM_RSRC2:TIDIG_COMP_CNT: 0
	.section	.text._Z18thread_load_kernelI12hip_bfloat16EvPT_S2_,"axG",@progbits,_Z18thread_load_kernelI12hip_bfloat16EvPT_S2_,comdat
	.protected	_Z18thread_load_kernelI12hip_bfloat16EvPT_S2_ ; -- Begin function _Z18thread_load_kernelI12hip_bfloat16EvPT_S2_
	.globl	_Z18thread_load_kernelI12hip_bfloat16EvPT_S2_
	.p2align	8
	.type	_Z18thread_load_kernelI12hip_bfloat16EvPT_S2_,@function
_Z18thread_load_kernelI12hip_bfloat16EvPT_S2_: ; @_Z18thread_load_kernelI12hip_bfloat16EvPT_S2_
; %bb.0:
	s_load_b128 s[4:7], s[0:1], 0x0
	s_mov_b64 s[2:3], src_private_base
	s_mov_b32 s2, 0
	s_delay_alu instid0(SALU_CYCLE_1)
	v_dual_mov_b32 v4, s3 :: v_dual_mov_b32 v3, s2
	s_waitcnt lgkmcnt(0)
	v_dual_mov_b32 v1, s4 :: v_dual_mov_b32 v2, s5
	flat_store_b64 v[3:4], v[1:2] dlc
	s_waitcnt_vscnt null, 0x0
	flat_load_b64 v[2:3], v[3:4] glc dlc
	s_waitcnt vmcnt(0)
	s_load_b32 s0, s[0:1], 0x1c
	s_waitcnt lgkmcnt(0)
	s_and_b32 s0, s0, 0xffff
	s_delay_alu instid0(SALU_CYCLE_1) | instskip(NEXT) | instid1(VALU_DEP_1)
	v_mad_u64_u32 v[6:7], null, s15, s0, v[0:1]
	v_dual_mov_b32 v7, 0 :: v_dual_and_b32 v4, 7, v6
	s_delay_alu instid0(VALU_DEP_1) | instskip(SKIP_1) | instid1(VALU_DEP_2)
	v_lshlrev_b64 v[0:1], 1, v[6:7]
	v_mov_b32_e32 v5, v7
                                        ; implicit-def: $vgpr6
	v_add_co_u32 v2, s0, v2, v0
	s_delay_alu instid0(VALU_DEP_1) | instskip(SKIP_1) | instid1(VALU_DEP_3)
	v_add_co_ci_u32_e64 v3, s0, v3, v1, s0
	s_mov_b32 s0, exec_lo
	v_cmpx_lt_i64_e32 2, v[4:5]
	s_xor_b32 s0, exec_lo, s0
	s_cbranch_execz .LBB5_14
; %bb.1:
	s_mov_b32 s1, exec_lo
                                        ; implicit-def: $vgpr6
	v_cmpx_lt_i64_e32 3, v[4:5]
	s_xor_b32 s1, exec_lo, s1
	s_cbranch_execz .LBB5_11
; %bb.2:
	s_mov_b32 s2, exec_lo
                                        ; implicit-def: $vgpr6
	;; [unrolled: 6-line block ×3, first 2 shown]
	v_cmpx_ne_u64_e32 5, v[4:5]
	s_xor_b32 s3, exec_lo, s3
	s_cbranch_execz .LBB5_5
; %bb.4:
	flat_load_u16 v6, v[2:3] glc dlc
	s_waitcnt vmcnt(0)
                                        ; implicit-def: $vgpr2_vgpr3
.LBB5_5:
	s_and_not1_saveexec_b32 s3, s3
	s_cbranch_execz .LBB5_7
; %bb.6:
	s_waitcnt vmcnt(0) lgkmcnt(0)
	flat_load_u16 v6, v[2:3]
.LBB5_7:
	s_or_b32 exec_lo, exec_lo, s3
                                        ; implicit-def: $vgpr2_vgpr3
.LBB5_8:
	s_and_not1_saveexec_b32 s2, s2
	s_cbranch_execz .LBB5_10
; %bb.9:
	s_waitcnt vmcnt(0) lgkmcnt(0)
	flat_load_u16 v6, v[2:3] glc dlc
	s_waitcnt vmcnt(0)
.LBB5_10:
	s_or_b32 exec_lo, exec_lo, s2
                                        ; implicit-def: $vgpr2_vgpr3
.LBB5_11:
	s_and_not1_saveexec_b32 s1, s1
	s_cbranch_execz .LBB5_13
; %bb.12:
	s_waitcnt vmcnt(0) lgkmcnt(0)
	flat_load_u16 v6, v[2:3] slc dlc
.LBB5_13:
	s_or_b32 exec_lo, exec_lo, s1
                                        ; implicit-def: $vgpr2_vgpr3
                                        ; implicit-def: $vgpr4_vgpr5
.LBB5_14:
	s_and_not1_saveexec_b32 s0, s0
	s_cbranch_execz .LBB5_24
; %bb.15:
	s_mov_b32 s1, exec_lo
                                        ; implicit-def: $vgpr6
	v_cmpx_lt_i64_e32 0, v[4:5]
	s_xor_b32 s1, exec_lo, s1
	s_cbranch_execz .LBB5_21
; %bb.16:
	s_mov_b32 s2, exec_lo
                                        ; implicit-def: $vgpr6
	v_cmpx_lt_i64_e32 1, v[4:5]
	s_xor_b32 s2, exec_lo, s2
	s_cbranch_execz .LBB5_18
; %bb.17:
	s_waitcnt vmcnt(0) lgkmcnt(0)
	flat_load_u16 v6, v[2:3]
                                        ; implicit-def: $vgpr2_vgpr3
.LBB5_18:
	s_and_not1_saveexec_b32 s2, s2
	s_cbranch_execz .LBB5_20
; %bb.19:
	s_waitcnt vmcnt(0) lgkmcnt(0)
	flat_load_u16 v6, v[2:3]
.LBB5_20:
	s_or_b32 exec_lo, exec_lo, s2
                                        ; implicit-def: $vgpr2_vgpr3
.LBB5_21:
	s_and_not1_saveexec_b32 s1, s1
	s_cbranch_execz .LBB5_23
; %bb.22:
	s_waitcnt vmcnt(0) lgkmcnt(0)
	flat_load_u16 v6, v[2:3]
.LBB5_23:
	s_or_b32 exec_lo, exec_lo, s1
.LBB5_24:
	s_delay_alu instid0(SALU_CYCLE_1)
	s_or_b32 exec_lo, exec_lo, s0
	v_add_co_u32 v0, vcc_lo, s6, v0
	v_add_co_ci_u32_e32 v1, vcc_lo, s7, v1, vcc_lo
	s_waitcnt vmcnt(0) lgkmcnt(0)
	global_store_b16 v[0:1], v6, off
	s_nop 0
	s_sendmsg sendmsg(MSG_DEALLOC_VGPRS)
	s_endpgm
	.section	.rodata,"a",@progbits
	.p2align	6, 0x0
	.amdhsa_kernel _Z18thread_load_kernelI12hip_bfloat16EvPT_S2_
		.amdhsa_group_segment_fixed_size 0
		.amdhsa_private_segment_fixed_size 16
		.amdhsa_kernarg_size 272
		.amdhsa_user_sgpr_count 15
		.amdhsa_user_sgpr_dispatch_ptr 0
		.amdhsa_user_sgpr_queue_ptr 0
		.amdhsa_user_sgpr_kernarg_segment_ptr 1
		.amdhsa_user_sgpr_dispatch_id 0
		.amdhsa_user_sgpr_private_segment_size 0
		.amdhsa_wavefront_size32 1
		.amdhsa_uses_dynamic_stack 0
		.amdhsa_enable_private_segment 1
		.amdhsa_system_sgpr_workgroup_id_x 1
		.amdhsa_system_sgpr_workgroup_id_y 0
		.amdhsa_system_sgpr_workgroup_id_z 0
		.amdhsa_system_sgpr_workgroup_info 0
		.amdhsa_system_vgpr_workitem_id 0
		.amdhsa_next_free_vgpr 8
		.amdhsa_next_free_sgpr 16
		.amdhsa_reserve_vcc 1
		.amdhsa_float_round_mode_32 0
		.amdhsa_float_round_mode_16_64 0
		.amdhsa_float_denorm_mode_32 3
		.amdhsa_float_denorm_mode_16_64 3
		.amdhsa_dx10_clamp 1
		.amdhsa_ieee_mode 1
		.amdhsa_fp16_overflow 0
		.amdhsa_workgroup_processor_mode 1
		.amdhsa_memory_ordered 1
		.amdhsa_forward_progress 0
		.amdhsa_shared_vgpr_count 0
		.amdhsa_exception_fp_ieee_invalid_op 0
		.amdhsa_exception_fp_denorm_src 0
		.amdhsa_exception_fp_ieee_div_zero 0
		.amdhsa_exception_fp_ieee_overflow 0
		.amdhsa_exception_fp_ieee_underflow 0
		.amdhsa_exception_fp_ieee_inexact 0
		.amdhsa_exception_int_div_zero 0
	.end_amdhsa_kernel
	.section	.text._Z18thread_load_kernelI12hip_bfloat16EvPT_S2_,"axG",@progbits,_Z18thread_load_kernelI12hip_bfloat16EvPT_S2_,comdat
.Lfunc_end5:
	.size	_Z18thread_load_kernelI12hip_bfloat16EvPT_S2_, .Lfunc_end5-_Z18thread_load_kernelI12hip_bfloat16EvPT_S2_
                                        ; -- End function
	.section	.AMDGPU.csdata,"",@progbits
; Kernel info:
; codeLenInByte = 436
; NumSgprs: 18
; NumVgprs: 8
; ScratchSize: 16
; MemoryBound: 0
; FloatMode: 240
; IeeeMode: 1
; LDSByteSize: 0 bytes/workgroup (compile time only)
; SGPRBlocks: 2
; VGPRBlocks: 0
; NumSGPRsForWavesPerEU: 18
; NumVGPRsForWavesPerEU: 8
; Occupancy: 16
; WaveLimiterHint : 1
; COMPUTE_PGM_RSRC2:SCRATCH_EN: 1
; COMPUTE_PGM_RSRC2:USER_SGPR: 15
; COMPUTE_PGM_RSRC2:TRAP_HANDLER: 0
; COMPUTE_PGM_RSRC2:TGID_X_EN: 1
; COMPUTE_PGM_RSRC2:TGID_Y_EN: 0
; COMPUTE_PGM_RSRC2:TGID_Z_EN: 0
; COMPUTE_PGM_RSRC2:TIDIG_COMP_CNT: 0
	.section	.text._Z18thread_load_kernelI6__halfEvPT_S2_,"axG",@progbits,_Z18thread_load_kernelI6__halfEvPT_S2_,comdat
	.protected	_Z18thread_load_kernelI6__halfEvPT_S2_ ; -- Begin function _Z18thread_load_kernelI6__halfEvPT_S2_
	.globl	_Z18thread_load_kernelI6__halfEvPT_S2_
	.p2align	8
	.type	_Z18thread_load_kernelI6__halfEvPT_S2_,@function
_Z18thread_load_kernelI6__halfEvPT_S2_: ; @_Z18thread_load_kernelI6__halfEvPT_S2_
; %bb.0:
	s_load_b128 s[4:7], s[0:1], 0x0
	s_mov_b64 s[2:3], src_private_base
	s_mov_b32 s2, 0
	s_delay_alu instid0(SALU_CYCLE_1)
	v_dual_mov_b32 v4, s3 :: v_dual_mov_b32 v3, s2
	s_waitcnt lgkmcnt(0)
	v_dual_mov_b32 v1, s4 :: v_dual_mov_b32 v2, s5
	flat_store_b64 v[3:4], v[1:2] dlc
	s_waitcnt_vscnt null, 0x0
	flat_load_b64 v[2:3], v[3:4] glc dlc
	s_waitcnt vmcnt(0)
	s_load_b32 s0, s[0:1], 0x1c
	s_waitcnt lgkmcnt(0)
	s_and_b32 s0, s0, 0xffff
	s_delay_alu instid0(SALU_CYCLE_1) | instskip(NEXT) | instid1(VALU_DEP_1)
	v_mad_u64_u32 v[6:7], null, s15, s0, v[0:1]
	v_dual_mov_b32 v7, 0 :: v_dual_and_b32 v4, 7, v6
	s_delay_alu instid0(VALU_DEP_1) | instskip(SKIP_1) | instid1(VALU_DEP_2)
	v_lshlrev_b64 v[0:1], 1, v[6:7]
	v_mov_b32_e32 v5, v7
                                        ; implicit-def: $vgpr6
	v_add_co_u32 v2, s0, v2, v0
	s_delay_alu instid0(VALU_DEP_1) | instskip(SKIP_1) | instid1(VALU_DEP_3)
	v_add_co_ci_u32_e64 v3, s0, v3, v1, s0
	s_mov_b32 s0, exec_lo
	v_cmpx_lt_i64_e32 2, v[4:5]
	s_xor_b32 s0, exec_lo, s0
	s_cbranch_execz .LBB6_14
; %bb.1:
	s_mov_b32 s1, exec_lo
                                        ; implicit-def: $vgpr6
	v_cmpx_lt_i64_e32 3, v[4:5]
	s_xor_b32 s1, exec_lo, s1
	s_cbranch_execz .LBB6_11
; %bb.2:
	s_mov_b32 s2, exec_lo
                                        ; implicit-def: $vgpr6
	;; [unrolled: 6-line block ×3, first 2 shown]
	v_cmpx_ne_u64_e32 5, v[4:5]
	s_xor_b32 s3, exec_lo, s3
	s_cbranch_execz .LBB6_5
; %bb.4:
	flat_load_u16 v6, v[2:3] glc dlc
	s_waitcnt vmcnt(0)
                                        ; implicit-def: $vgpr2_vgpr3
.LBB6_5:
	s_and_not1_saveexec_b32 s3, s3
	s_cbranch_execz .LBB6_7
; %bb.6:
	s_waitcnt vmcnt(0) lgkmcnt(0)
	flat_load_u16 v6, v[2:3]
.LBB6_7:
	s_or_b32 exec_lo, exec_lo, s3
                                        ; implicit-def: $vgpr2_vgpr3
.LBB6_8:
	s_and_not1_saveexec_b32 s2, s2
	s_cbranch_execz .LBB6_10
; %bb.9:
	s_waitcnt vmcnt(0) lgkmcnt(0)
	flat_load_u16 v6, v[2:3] glc dlc
	s_waitcnt vmcnt(0)
.LBB6_10:
	s_or_b32 exec_lo, exec_lo, s2
                                        ; implicit-def: $vgpr2_vgpr3
.LBB6_11:
	s_and_not1_saveexec_b32 s1, s1
	s_cbranch_execz .LBB6_13
; %bb.12:
	s_waitcnt vmcnt(0) lgkmcnt(0)
	flat_load_u16 v6, v[2:3] slc dlc
.LBB6_13:
	s_or_b32 exec_lo, exec_lo, s1
                                        ; implicit-def: $vgpr2_vgpr3
                                        ; implicit-def: $vgpr4_vgpr5
.LBB6_14:
	s_and_not1_saveexec_b32 s0, s0
	s_cbranch_execz .LBB6_24
; %bb.15:
	s_mov_b32 s1, exec_lo
                                        ; implicit-def: $vgpr6
	v_cmpx_lt_i64_e32 0, v[4:5]
	s_xor_b32 s1, exec_lo, s1
	s_cbranch_execz .LBB6_21
; %bb.16:
	s_mov_b32 s2, exec_lo
                                        ; implicit-def: $vgpr6
	v_cmpx_lt_i64_e32 1, v[4:5]
	s_xor_b32 s2, exec_lo, s2
	s_cbranch_execz .LBB6_18
; %bb.17:
	s_waitcnt vmcnt(0) lgkmcnt(0)
	flat_load_u16 v6, v[2:3]
                                        ; implicit-def: $vgpr2_vgpr3
.LBB6_18:
	s_and_not1_saveexec_b32 s2, s2
	s_cbranch_execz .LBB6_20
; %bb.19:
	s_waitcnt vmcnt(0) lgkmcnt(0)
	flat_load_u16 v6, v[2:3]
.LBB6_20:
	s_or_b32 exec_lo, exec_lo, s2
                                        ; implicit-def: $vgpr2_vgpr3
.LBB6_21:
	s_and_not1_saveexec_b32 s1, s1
	s_cbranch_execz .LBB6_23
; %bb.22:
	s_waitcnt vmcnt(0) lgkmcnt(0)
	flat_load_u16 v6, v[2:3]
.LBB6_23:
	s_or_b32 exec_lo, exec_lo, s1
.LBB6_24:
	s_delay_alu instid0(SALU_CYCLE_1)
	s_or_b32 exec_lo, exec_lo, s0
	v_add_co_u32 v0, vcc_lo, s6, v0
	v_add_co_ci_u32_e32 v1, vcc_lo, s7, v1, vcc_lo
	s_waitcnt vmcnt(0) lgkmcnt(0)
	global_store_b16 v[0:1], v6, off
	s_nop 0
	s_sendmsg sendmsg(MSG_DEALLOC_VGPRS)
	s_endpgm
	.section	.rodata,"a",@progbits
	.p2align	6, 0x0
	.amdhsa_kernel _Z18thread_load_kernelI6__halfEvPT_S2_
		.amdhsa_group_segment_fixed_size 0
		.amdhsa_private_segment_fixed_size 16
		.amdhsa_kernarg_size 272
		.amdhsa_user_sgpr_count 15
		.amdhsa_user_sgpr_dispatch_ptr 0
		.amdhsa_user_sgpr_queue_ptr 0
		.amdhsa_user_sgpr_kernarg_segment_ptr 1
		.amdhsa_user_sgpr_dispatch_id 0
		.amdhsa_user_sgpr_private_segment_size 0
		.amdhsa_wavefront_size32 1
		.amdhsa_uses_dynamic_stack 0
		.amdhsa_enable_private_segment 1
		.amdhsa_system_sgpr_workgroup_id_x 1
		.amdhsa_system_sgpr_workgroup_id_y 0
		.amdhsa_system_sgpr_workgroup_id_z 0
		.amdhsa_system_sgpr_workgroup_info 0
		.amdhsa_system_vgpr_workitem_id 0
		.amdhsa_next_free_vgpr 8
		.amdhsa_next_free_sgpr 16
		.amdhsa_reserve_vcc 1
		.amdhsa_float_round_mode_32 0
		.amdhsa_float_round_mode_16_64 0
		.amdhsa_float_denorm_mode_32 3
		.amdhsa_float_denorm_mode_16_64 3
		.amdhsa_dx10_clamp 1
		.amdhsa_ieee_mode 1
		.amdhsa_fp16_overflow 0
		.amdhsa_workgroup_processor_mode 1
		.amdhsa_memory_ordered 1
		.amdhsa_forward_progress 0
		.amdhsa_shared_vgpr_count 0
		.amdhsa_exception_fp_ieee_invalid_op 0
		.amdhsa_exception_fp_denorm_src 0
		.amdhsa_exception_fp_ieee_div_zero 0
		.amdhsa_exception_fp_ieee_overflow 0
		.amdhsa_exception_fp_ieee_underflow 0
		.amdhsa_exception_fp_ieee_inexact 0
		.amdhsa_exception_int_div_zero 0
	.end_amdhsa_kernel
	.section	.text._Z18thread_load_kernelI6__halfEvPT_S2_,"axG",@progbits,_Z18thread_load_kernelI6__halfEvPT_S2_,comdat
.Lfunc_end6:
	.size	_Z18thread_load_kernelI6__halfEvPT_S2_, .Lfunc_end6-_Z18thread_load_kernelI6__halfEvPT_S2_
                                        ; -- End function
	.section	.AMDGPU.csdata,"",@progbits
; Kernel info:
; codeLenInByte = 436
; NumSgprs: 18
; NumVgprs: 8
; ScratchSize: 16
; MemoryBound: 0
; FloatMode: 240
; IeeeMode: 1
; LDSByteSize: 0 bytes/workgroup (compile time only)
; SGPRBlocks: 2
; VGPRBlocks: 0
; NumSGPRsForWavesPerEU: 18
; NumVGPRsForWavesPerEU: 8
; Occupancy: 16
; WaveLimiterHint : 1
; COMPUTE_PGM_RSRC2:SCRATCH_EN: 1
; COMPUTE_PGM_RSRC2:USER_SGPR: 15
; COMPUTE_PGM_RSRC2:TRAP_HANDLER: 0
; COMPUTE_PGM_RSRC2:TGID_X_EN: 1
; COMPUTE_PGM_RSRC2:TGID_Y_EN: 0
; COMPUTE_PGM_RSRC2:TGID_Z_EN: 0
; COMPUTE_PGM_RSRC2:TIDIG_COMP_CNT: 0
	.section	.text._Z18thread_load_kernelIiEvPT_S1_,"axG",@progbits,_Z18thread_load_kernelIiEvPT_S1_,comdat
	.protected	_Z18thread_load_kernelIiEvPT_S1_ ; -- Begin function _Z18thread_load_kernelIiEvPT_S1_
	.globl	_Z18thread_load_kernelIiEvPT_S1_
	.p2align	8
	.type	_Z18thread_load_kernelIiEvPT_S1_,@function
_Z18thread_load_kernelIiEvPT_S1_:       ; @_Z18thread_load_kernelIiEvPT_S1_
; %bb.0:
	s_load_b128 s[4:7], s[0:1], 0x0
	s_mov_b64 s[2:3], src_private_base
	s_mov_b32 s2, 0
	s_delay_alu instid0(SALU_CYCLE_1)
	v_dual_mov_b32 v4, s3 :: v_dual_mov_b32 v3, s2
	s_waitcnt lgkmcnt(0)
	v_dual_mov_b32 v1, s4 :: v_dual_mov_b32 v2, s5
	flat_store_b64 v[3:4], v[1:2] dlc
	s_waitcnt_vscnt null, 0x0
	flat_load_b64 v[2:3], v[3:4] glc dlc
	s_waitcnt vmcnt(0)
	s_load_b32 s0, s[0:1], 0x1c
	s_waitcnt lgkmcnt(0)
	s_and_b32 s0, s0, 0xffff
	s_delay_alu instid0(SALU_CYCLE_1) | instskip(NEXT) | instid1(VALU_DEP_1)
	v_mad_u64_u32 v[6:7], null, s15, s0, v[0:1]
	v_dual_mov_b32 v7, 0 :: v_dual_and_b32 v4, 7, v6
	s_delay_alu instid0(VALU_DEP_1) | instskip(SKIP_1) | instid1(VALU_DEP_2)
	v_lshlrev_b64 v[0:1], 2, v[6:7]
	v_mov_b32_e32 v5, v7
                                        ; implicit-def: $vgpr6
	v_add_co_u32 v2, s0, v2, v0
	s_delay_alu instid0(VALU_DEP_1) | instskip(SKIP_1) | instid1(VALU_DEP_3)
	v_add_co_ci_u32_e64 v3, s0, v3, v1, s0
	s_mov_b32 s0, exec_lo
	v_cmpx_lt_i64_e32 2, v[4:5]
	s_xor_b32 s0, exec_lo, s0
	s_cbranch_execz .LBB7_14
; %bb.1:
	s_mov_b32 s1, exec_lo
                                        ; implicit-def: $vgpr6
	v_cmpx_lt_i64_e32 3, v[4:5]
	s_xor_b32 s1, exec_lo, s1
	s_cbranch_execz .LBB7_11
; %bb.2:
	s_mov_b32 s2, exec_lo
                                        ; implicit-def: $vgpr6
	;; [unrolled: 6-line block ×3, first 2 shown]
	v_cmpx_ne_u64_e32 5, v[4:5]
	s_xor_b32 s3, exec_lo, s3
	s_cbranch_execz .LBB7_5
; %bb.4:
	flat_load_b32 v6, v[2:3] glc dlc
	s_waitcnt vmcnt(0)
                                        ; implicit-def: $vgpr2_vgpr3
.LBB7_5:
	s_and_not1_saveexec_b32 s3, s3
	s_cbranch_execz .LBB7_7
; %bb.6:
	s_waitcnt vmcnt(0) lgkmcnt(0)
	flat_load_b32 v6, v[2:3]
.LBB7_7:
	s_or_b32 exec_lo, exec_lo, s3
                                        ; implicit-def: $vgpr2_vgpr3
.LBB7_8:
	s_and_not1_saveexec_b32 s2, s2
	s_cbranch_execz .LBB7_10
; %bb.9:
	s_waitcnt vmcnt(0) lgkmcnt(0)
	flat_load_b32 v6, v[2:3] glc dlc
	s_waitcnt vmcnt(0)
.LBB7_10:
	s_or_b32 exec_lo, exec_lo, s2
                                        ; implicit-def: $vgpr2_vgpr3
.LBB7_11:
	s_and_not1_saveexec_b32 s1, s1
	s_cbranch_execz .LBB7_13
; %bb.12:
	s_waitcnt vmcnt(0) lgkmcnt(0)
	flat_load_b32 v6, v[2:3] slc dlc
.LBB7_13:
	s_or_b32 exec_lo, exec_lo, s1
                                        ; implicit-def: $vgpr2_vgpr3
                                        ; implicit-def: $vgpr4_vgpr5
.LBB7_14:
	s_and_not1_saveexec_b32 s0, s0
	s_cbranch_execz .LBB7_24
; %bb.15:
	s_mov_b32 s1, exec_lo
                                        ; implicit-def: $vgpr6
	v_cmpx_lt_i64_e32 0, v[4:5]
	s_xor_b32 s1, exec_lo, s1
	s_cbranch_execz .LBB7_21
; %bb.16:
	s_mov_b32 s2, exec_lo
                                        ; implicit-def: $vgpr6
	v_cmpx_lt_i64_e32 1, v[4:5]
	s_xor_b32 s2, exec_lo, s2
	s_cbranch_execz .LBB7_18
; %bb.17:
	s_waitcnt vmcnt(0) lgkmcnt(0)
	flat_load_b32 v6, v[2:3]
                                        ; implicit-def: $vgpr2_vgpr3
.LBB7_18:
	s_and_not1_saveexec_b32 s2, s2
	s_cbranch_execz .LBB7_20
; %bb.19:
	s_waitcnt vmcnt(0) lgkmcnt(0)
	flat_load_b32 v6, v[2:3]
.LBB7_20:
	s_or_b32 exec_lo, exec_lo, s2
                                        ; implicit-def: $vgpr2_vgpr3
.LBB7_21:
	s_and_not1_saveexec_b32 s1, s1
	s_cbranch_execz .LBB7_23
; %bb.22:
	s_waitcnt vmcnt(0) lgkmcnt(0)
	flat_load_b32 v6, v[2:3]
.LBB7_23:
	s_or_b32 exec_lo, exec_lo, s1
.LBB7_24:
	s_delay_alu instid0(SALU_CYCLE_1)
	s_or_b32 exec_lo, exec_lo, s0
	v_add_co_u32 v0, vcc_lo, s6, v0
	v_add_co_ci_u32_e32 v1, vcc_lo, s7, v1, vcc_lo
	s_waitcnt vmcnt(0) lgkmcnt(0)
	global_store_b32 v[0:1], v6, off
	s_nop 0
	s_sendmsg sendmsg(MSG_DEALLOC_VGPRS)
	s_endpgm
	.section	.rodata,"a",@progbits
	.p2align	6, 0x0
	.amdhsa_kernel _Z18thread_load_kernelIiEvPT_S1_
		.amdhsa_group_segment_fixed_size 0
		.amdhsa_private_segment_fixed_size 16
		.amdhsa_kernarg_size 272
		.amdhsa_user_sgpr_count 15
		.amdhsa_user_sgpr_dispatch_ptr 0
		.amdhsa_user_sgpr_queue_ptr 0
		.amdhsa_user_sgpr_kernarg_segment_ptr 1
		.amdhsa_user_sgpr_dispatch_id 0
		.amdhsa_user_sgpr_private_segment_size 0
		.amdhsa_wavefront_size32 1
		.amdhsa_uses_dynamic_stack 0
		.amdhsa_enable_private_segment 1
		.amdhsa_system_sgpr_workgroup_id_x 1
		.amdhsa_system_sgpr_workgroup_id_y 0
		.amdhsa_system_sgpr_workgroup_id_z 0
		.amdhsa_system_sgpr_workgroup_info 0
		.amdhsa_system_vgpr_workitem_id 0
		.amdhsa_next_free_vgpr 8
		.amdhsa_next_free_sgpr 16
		.amdhsa_reserve_vcc 1
		.amdhsa_float_round_mode_32 0
		.amdhsa_float_round_mode_16_64 0
		.amdhsa_float_denorm_mode_32 3
		.amdhsa_float_denorm_mode_16_64 3
		.amdhsa_dx10_clamp 1
		.amdhsa_ieee_mode 1
		.amdhsa_fp16_overflow 0
		.amdhsa_workgroup_processor_mode 1
		.amdhsa_memory_ordered 1
		.amdhsa_forward_progress 0
		.amdhsa_shared_vgpr_count 0
		.amdhsa_exception_fp_ieee_invalid_op 0
		.amdhsa_exception_fp_denorm_src 0
		.amdhsa_exception_fp_ieee_div_zero 0
		.amdhsa_exception_fp_ieee_overflow 0
		.amdhsa_exception_fp_ieee_underflow 0
		.amdhsa_exception_fp_ieee_inexact 0
		.amdhsa_exception_int_div_zero 0
	.end_amdhsa_kernel
	.section	.text._Z18thread_load_kernelIiEvPT_S1_,"axG",@progbits,_Z18thread_load_kernelIiEvPT_S1_,comdat
.Lfunc_end7:
	.size	_Z18thread_load_kernelIiEvPT_S1_, .Lfunc_end7-_Z18thread_load_kernelIiEvPT_S1_
                                        ; -- End function
	.section	.AMDGPU.csdata,"",@progbits
; Kernel info:
; codeLenInByte = 436
; NumSgprs: 18
; NumVgprs: 8
; ScratchSize: 16
; MemoryBound: 0
; FloatMode: 240
; IeeeMode: 1
; LDSByteSize: 0 bytes/workgroup (compile time only)
; SGPRBlocks: 2
; VGPRBlocks: 0
; NumSGPRsForWavesPerEU: 18
; NumVGPRsForWavesPerEU: 8
; Occupancy: 16
; WaveLimiterHint : 1
; COMPUTE_PGM_RSRC2:SCRATCH_EN: 1
; COMPUTE_PGM_RSRC2:USER_SGPR: 15
; COMPUTE_PGM_RSRC2:TRAP_HANDLER: 0
; COMPUTE_PGM_RSRC2:TGID_X_EN: 1
; COMPUTE_PGM_RSRC2:TGID_Y_EN: 0
; COMPUTE_PGM_RSRC2:TGID_Z_EN: 0
; COMPUTE_PGM_RSRC2:TIDIG_COMP_CNT: 0
	.section	.text._Z18thread_load_kernelImEvPT_S1_,"axG",@progbits,_Z18thread_load_kernelImEvPT_S1_,comdat
	.protected	_Z18thread_load_kernelImEvPT_S1_ ; -- Begin function _Z18thread_load_kernelImEvPT_S1_
	.globl	_Z18thread_load_kernelImEvPT_S1_
	.p2align	8
	.type	_Z18thread_load_kernelImEvPT_S1_,@function
_Z18thread_load_kernelImEvPT_S1_:       ; @_Z18thread_load_kernelImEvPT_S1_
; %bb.0:
	s_load_b128 s[4:7], s[0:1], 0x0
	s_mov_b64 s[2:3], src_private_base
	s_mov_b32 s2, 0
	s_delay_alu instid0(SALU_CYCLE_1)
	v_dual_mov_b32 v4, s3 :: v_dual_mov_b32 v3, s2
	s_waitcnt lgkmcnt(0)
	v_dual_mov_b32 v1, s4 :: v_dual_mov_b32 v2, s5
	flat_store_b64 v[3:4], v[1:2] dlc
	s_waitcnt_vscnt null, 0x0
	flat_load_b64 v[2:3], v[3:4] glc dlc
	s_waitcnt vmcnt(0)
	s_load_b32 s0, s[0:1], 0x1c
	s_waitcnt lgkmcnt(0)
	s_and_b32 s0, s0, 0xffff
	s_delay_alu instid0(SALU_CYCLE_1) | instskip(NEXT) | instid1(VALU_DEP_1)
	v_mad_u64_u32 v[4:5], null, s15, s0, v[0:1]
	v_dual_mov_b32 v5, 0 :: v_dual_and_b32 v6, 7, v4
	s_delay_alu instid0(VALU_DEP_1) | instskip(SKIP_1) | instid1(VALU_DEP_2)
	v_lshlrev_b64 v[0:1], 3, v[4:5]
	v_mov_b32_e32 v7, v5
	v_add_co_u32 v4, s0, v2, v0
	s_delay_alu instid0(VALU_DEP_1) | instskip(SKIP_1) | instid1(VALU_DEP_3)
	v_add_co_ci_u32_e64 v5, s0, v3, v1, s0
	s_mov_b32 s0, exec_lo
                                        ; implicit-def: $vgpr2_vgpr3
	v_cmpx_lt_i64_e32 2, v[6:7]
	s_xor_b32 s0, exec_lo, s0
	s_cbranch_execz .LBB8_14
; %bb.1:
	s_mov_b32 s1, exec_lo
                                        ; implicit-def: $vgpr2_vgpr3
	v_cmpx_lt_i64_e32 3, v[6:7]
	s_xor_b32 s1, exec_lo, s1
	s_cbranch_execz .LBB8_11
; %bb.2:
	;; [unrolled: 6-line block ×3, first 2 shown]
	s_mov_b32 s3, exec_lo
                                        ; implicit-def: $vgpr2_vgpr3
	v_cmpx_ne_u64_e32 5, v[6:7]
	s_xor_b32 s3, exec_lo, s3
	s_cbranch_execz .LBB8_5
; %bb.4:
	flat_load_b64 v[2:3], v[4:5] glc dlc
	s_waitcnt vmcnt(0)
                                        ; implicit-def: $vgpr4_vgpr5
.LBB8_5:
	s_and_not1_saveexec_b32 s3, s3
	s_cbranch_execz .LBB8_7
; %bb.6:
	s_waitcnt vmcnt(0) lgkmcnt(0)
	flat_load_b64 v[2:3], v[4:5]
.LBB8_7:
	s_or_b32 exec_lo, exec_lo, s3
                                        ; implicit-def: $vgpr4_vgpr5
.LBB8_8:
	s_and_not1_saveexec_b32 s2, s2
	s_cbranch_execz .LBB8_10
; %bb.9:
	s_waitcnt vmcnt(0) lgkmcnt(0)
	flat_load_b64 v[2:3], v[4:5] glc dlc
	s_waitcnt vmcnt(0)
.LBB8_10:
	s_or_b32 exec_lo, exec_lo, s2
                                        ; implicit-def: $vgpr4_vgpr5
.LBB8_11:
	s_and_not1_saveexec_b32 s1, s1
	s_cbranch_execz .LBB8_13
; %bb.12:
	s_waitcnt vmcnt(0) lgkmcnt(0)
	flat_load_b64 v[2:3], v[4:5] slc dlc
.LBB8_13:
	s_or_b32 exec_lo, exec_lo, s1
                                        ; implicit-def: $vgpr4_vgpr5
                                        ; implicit-def: $vgpr6_vgpr7
.LBB8_14:
	s_and_not1_saveexec_b32 s0, s0
	s_cbranch_execz .LBB8_24
; %bb.15:
	s_mov_b32 s1, exec_lo
                                        ; implicit-def: $vgpr2_vgpr3
	v_cmpx_lt_i64_e32 0, v[6:7]
	s_xor_b32 s1, exec_lo, s1
	s_cbranch_execz .LBB8_21
; %bb.16:
	s_mov_b32 s2, exec_lo
                                        ; implicit-def: $vgpr2_vgpr3
	v_cmpx_lt_i64_e32 1, v[6:7]
	s_xor_b32 s2, exec_lo, s2
	s_cbranch_execz .LBB8_18
; %bb.17:
	s_waitcnt vmcnt(0) lgkmcnt(0)
	;;#ASMSTART
	flat_load_dwordx2 v[2:3], v[4:5] glc slc
	s_waitcnt(0)
	;;#ASMEND
                                        ; implicit-def: $vgpr4_vgpr5
.LBB8_18:
	s_and_not1_saveexec_b32 s2, s2
	s_cbranch_execz .LBB8_20
; %bb.19:
	s_waitcnt vmcnt(0) lgkmcnt(0)
	flat_load_b64 v[2:3], v[4:5]
.LBB8_20:
	s_or_b32 exec_lo, exec_lo, s2
                                        ; implicit-def: $vgpr4_vgpr5
.LBB8_21:
	s_and_not1_saveexec_b32 s1, s1
	s_cbranch_execz .LBB8_23
; %bb.22:
	s_waitcnt vmcnt(0) lgkmcnt(0)
	flat_load_b64 v[2:3], v[4:5]
.LBB8_23:
	s_or_b32 exec_lo, exec_lo, s1
.LBB8_24:
	s_delay_alu instid0(SALU_CYCLE_1)
	s_or_b32 exec_lo, exec_lo, s0
	v_add_co_u32 v0, vcc_lo, s6, v0
	v_add_co_ci_u32_e32 v1, vcc_lo, s7, v1, vcc_lo
	s_waitcnt vmcnt(0) lgkmcnt(0)
	global_store_b64 v[0:1], v[2:3], off
	s_nop 0
	s_sendmsg sendmsg(MSG_DEALLOC_VGPRS)
	s_endpgm
	.section	.rodata,"a",@progbits
	.p2align	6, 0x0
	.amdhsa_kernel _Z18thread_load_kernelImEvPT_S1_
		.amdhsa_group_segment_fixed_size 0
		.amdhsa_private_segment_fixed_size 16
		.amdhsa_kernarg_size 272
		.amdhsa_user_sgpr_count 15
		.amdhsa_user_sgpr_dispatch_ptr 0
		.amdhsa_user_sgpr_queue_ptr 0
		.amdhsa_user_sgpr_kernarg_segment_ptr 1
		.amdhsa_user_sgpr_dispatch_id 0
		.amdhsa_user_sgpr_private_segment_size 0
		.amdhsa_wavefront_size32 1
		.amdhsa_uses_dynamic_stack 0
		.amdhsa_enable_private_segment 1
		.amdhsa_system_sgpr_workgroup_id_x 1
		.amdhsa_system_sgpr_workgroup_id_y 0
		.amdhsa_system_sgpr_workgroup_id_z 0
		.amdhsa_system_sgpr_workgroup_info 0
		.amdhsa_system_vgpr_workitem_id 0
		.amdhsa_next_free_vgpr 8
		.amdhsa_next_free_sgpr 16
		.amdhsa_reserve_vcc 1
		.amdhsa_float_round_mode_32 0
		.amdhsa_float_round_mode_16_64 0
		.amdhsa_float_denorm_mode_32 3
		.amdhsa_float_denorm_mode_16_64 3
		.amdhsa_dx10_clamp 1
		.amdhsa_ieee_mode 1
		.amdhsa_fp16_overflow 0
		.amdhsa_workgroup_processor_mode 1
		.amdhsa_memory_ordered 1
		.amdhsa_forward_progress 0
		.amdhsa_shared_vgpr_count 0
		.amdhsa_exception_fp_ieee_invalid_op 0
		.amdhsa_exception_fp_denorm_src 0
		.amdhsa_exception_fp_ieee_div_zero 0
		.amdhsa_exception_fp_ieee_overflow 0
		.amdhsa_exception_fp_ieee_underflow 0
		.amdhsa_exception_fp_ieee_inexact 0
		.amdhsa_exception_int_div_zero 0
	.end_amdhsa_kernel
	.section	.text._Z18thread_load_kernelImEvPT_S1_,"axG",@progbits,_Z18thread_load_kernelImEvPT_S1_,comdat
.Lfunc_end8:
	.size	_Z18thread_load_kernelImEvPT_S1_, .Lfunc_end8-_Z18thread_load_kernelImEvPT_S1_
                                        ; -- End function
	.section	.AMDGPU.csdata,"",@progbits
; Kernel info:
; codeLenInByte = 468
; NumSgprs: 18
; NumVgprs: 8
; ScratchSize: 16
; MemoryBound: 0
; FloatMode: 240
; IeeeMode: 1
; LDSByteSize: 0 bytes/workgroup (compile time only)
; SGPRBlocks: 2
; VGPRBlocks: 0
; NumSGPRsForWavesPerEU: 18
; NumVGPRsForWavesPerEU: 8
; Occupancy: 16
; WaveLimiterHint : 1
; COMPUTE_PGM_RSRC2:SCRATCH_EN: 1
; COMPUTE_PGM_RSRC2:USER_SGPR: 15
; COMPUTE_PGM_RSRC2:TRAP_HANDLER: 0
; COMPUTE_PGM_RSRC2:TGID_X_EN: 1
; COMPUTE_PGM_RSRC2:TGID_Y_EN: 0
; COMPUTE_PGM_RSRC2:TGID_Z_EN: 0
; COMPUTE_PGM_RSRC2:TIDIG_COMP_CNT: 0
	.section	.text._Z18thread_load_kernelIjEvPT_S1_,"axG",@progbits,_Z18thread_load_kernelIjEvPT_S1_,comdat
	.protected	_Z18thread_load_kernelIjEvPT_S1_ ; -- Begin function _Z18thread_load_kernelIjEvPT_S1_
	.globl	_Z18thread_load_kernelIjEvPT_S1_
	.p2align	8
	.type	_Z18thread_load_kernelIjEvPT_S1_,@function
_Z18thread_load_kernelIjEvPT_S1_:       ; @_Z18thread_load_kernelIjEvPT_S1_
; %bb.0:
	s_load_b128 s[4:7], s[0:1], 0x0
	s_mov_b64 s[2:3], src_private_base
	s_mov_b32 s2, 0
	s_delay_alu instid0(SALU_CYCLE_1)
	v_dual_mov_b32 v4, s3 :: v_dual_mov_b32 v3, s2
	s_waitcnt lgkmcnt(0)
	v_dual_mov_b32 v1, s4 :: v_dual_mov_b32 v2, s5
	flat_store_b64 v[3:4], v[1:2] dlc
	s_waitcnt_vscnt null, 0x0
	flat_load_b64 v[2:3], v[3:4] glc dlc
	s_waitcnt vmcnt(0)
	s_load_b32 s0, s[0:1], 0x1c
	s_waitcnt lgkmcnt(0)
	s_and_b32 s0, s0, 0xffff
	s_delay_alu instid0(SALU_CYCLE_1) | instskip(NEXT) | instid1(VALU_DEP_1)
	v_mad_u64_u32 v[6:7], null, s15, s0, v[0:1]
	v_dual_mov_b32 v7, 0 :: v_dual_and_b32 v4, 7, v6
	s_delay_alu instid0(VALU_DEP_1) | instskip(SKIP_1) | instid1(VALU_DEP_2)
	v_lshlrev_b64 v[0:1], 2, v[6:7]
	v_mov_b32_e32 v5, v7
                                        ; implicit-def: $vgpr6
	v_add_co_u32 v2, s0, v2, v0
	s_delay_alu instid0(VALU_DEP_1) | instskip(SKIP_1) | instid1(VALU_DEP_3)
	v_add_co_ci_u32_e64 v3, s0, v3, v1, s0
	s_mov_b32 s0, exec_lo
	v_cmpx_lt_i64_e32 2, v[4:5]
	s_xor_b32 s0, exec_lo, s0
	s_cbranch_execz .LBB9_14
; %bb.1:
	s_mov_b32 s1, exec_lo
                                        ; implicit-def: $vgpr6
	v_cmpx_lt_i64_e32 3, v[4:5]
	s_xor_b32 s1, exec_lo, s1
	s_cbranch_execz .LBB9_11
; %bb.2:
	s_mov_b32 s2, exec_lo
                                        ; implicit-def: $vgpr6
	;; [unrolled: 6-line block ×3, first 2 shown]
	v_cmpx_ne_u64_e32 5, v[4:5]
	s_xor_b32 s3, exec_lo, s3
	s_cbranch_execz .LBB9_5
; %bb.4:
	flat_load_b32 v6, v[2:3] glc dlc
	s_waitcnt vmcnt(0)
                                        ; implicit-def: $vgpr2_vgpr3
.LBB9_5:
	s_and_not1_saveexec_b32 s3, s3
	s_cbranch_execz .LBB9_7
; %bb.6:
	s_waitcnt vmcnt(0) lgkmcnt(0)
	flat_load_b32 v6, v[2:3]
.LBB9_7:
	s_or_b32 exec_lo, exec_lo, s3
                                        ; implicit-def: $vgpr2_vgpr3
.LBB9_8:
	s_and_not1_saveexec_b32 s2, s2
	s_cbranch_execz .LBB9_10
; %bb.9:
	s_waitcnt vmcnt(0) lgkmcnt(0)
	flat_load_b32 v6, v[2:3] glc dlc
	s_waitcnt vmcnt(0)
.LBB9_10:
	s_or_b32 exec_lo, exec_lo, s2
                                        ; implicit-def: $vgpr2_vgpr3
.LBB9_11:
	s_and_not1_saveexec_b32 s1, s1
	s_cbranch_execz .LBB9_13
; %bb.12:
	s_waitcnt vmcnt(0) lgkmcnt(0)
	flat_load_b32 v6, v[2:3] slc dlc
.LBB9_13:
	s_or_b32 exec_lo, exec_lo, s1
                                        ; implicit-def: $vgpr2_vgpr3
                                        ; implicit-def: $vgpr4_vgpr5
.LBB9_14:
	s_and_not1_saveexec_b32 s0, s0
	s_cbranch_execz .LBB9_24
; %bb.15:
	s_mov_b32 s1, exec_lo
                                        ; implicit-def: $vgpr6
	v_cmpx_lt_i64_e32 0, v[4:5]
	s_xor_b32 s1, exec_lo, s1
	s_cbranch_execz .LBB9_21
; %bb.16:
	s_mov_b32 s2, exec_lo
                                        ; implicit-def: $vgpr6
	v_cmpx_lt_i64_e32 1, v[4:5]
	s_xor_b32 s2, exec_lo, s2
	s_cbranch_execz .LBB9_18
; %bb.17:
	s_waitcnt vmcnt(0) lgkmcnt(0)
	;;#ASMSTART
	flat_load_dword v6, v[2:3] glc slc
	s_waitcnt(0)
	;;#ASMEND
                                        ; implicit-def: $vgpr2_vgpr3
.LBB9_18:
	s_and_not1_saveexec_b32 s2, s2
	s_cbranch_execz .LBB9_20
; %bb.19:
	s_waitcnt vmcnt(0) lgkmcnt(0)
	flat_load_b32 v6, v[2:3]
.LBB9_20:
	s_or_b32 exec_lo, exec_lo, s2
                                        ; implicit-def: $vgpr2_vgpr3
.LBB9_21:
	s_and_not1_saveexec_b32 s1, s1
	s_cbranch_execz .LBB9_23
; %bb.22:
	s_waitcnt vmcnt(0) lgkmcnt(0)
	flat_load_b32 v6, v[2:3]
.LBB9_23:
	s_or_b32 exec_lo, exec_lo, s1
.LBB9_24:
	s_delay_alu instid0(SALU_CYCLE_1)
	s_or_b32 exec_lo, exec_lo, s0
	v_add_co_u32 v0, vcc_lo, s6, v0
	v_add_co_ci_u32_e32 v1, vcc_lo, s7, v1, vcc_lo
	s_waitcnt vmcnt(0) lgkmcnt(0)
	global_store_b32 v[0:1], v6, off
	s_nop 0
	s_sendmsg sendmsg(MSG_DEALLOC_VGPRS)
	s_endpgm
	.section	.rodata,"a",@progbits
	.p2align	6, 0x0
	.amdhsa_kernel _Z18thread_load_kernelIjEvPT_S1_
		.amdhsa_group_segment_fixed_size 0
		.amdhsa_private_segment_fixed_size 16
		.amdhsa_kernarg_size 272
		.amdhsa_user_sgpr_count 15
		.amdhsa_user_sgpr_dispatch_ptr 0
		.amdhsa_user_sgpr_queue_ptr 0
		.amdhsa_user_sgpr_kernarg_segment_ptr 1
		.amdhsa_user_sgpr_dispatch_id 0
		.amdhsa_user_sgpr_private_segment_size 0
		.amdhsa_wavefront_size32 1
		.amdhsa_uses_dynamic_stack 0
		.amdhsa_enable_private_segment 1
		.amdhsa_system_sgpr_workgroup_id_x 1
		.amdhsa_system_sgpr_workgroup_id_y 0
		.amdhsa_system_sgpr_workgroup_id_z 0
		.amdhsa_system_sgpr_workgroup_info 0
		.amdhsa_system_vgpr_workitem_id 0
		.amdhsa_next_free_vgpr 8
		.amdhsa_next_free_sgpr 16
		.amdhsa_reserve_vcc 1
		.amdhsa_float_round_mode_32 0
		.amdhsa_float_round_mode_16_64 0
		.amdhsa_float_denorm_mode_32 3
		.amdhsa_float_denorm_mode_16_64 3
		.amdhsa_dx10_clamp 1
		.amdhsa_ieee_mode 1
		.amdhsa_fp16_overflow 0
		.amdhsa_workgroup_processor_mode 1
		.amdhsa_memory_ordered 1
		.amdhsa_forward_progress 0
		.amdhsa_shared_vgpr_count 0
		.amdhsa_exception_fp_ieee_invalid_op 0
		.amdhsa_exception_fp_denorm_src 0
		.amdhsa_exception_fp_ieee_div_zero 0
		.amdhsa_exception_fp_ieee_overflow 0
		.amdhsa_exception_fp_ieee_underflow 0
		.amdhsa_exception_fp_ieee_inexact 0
		.amdhsa_exception_int_div_zero 0
	.end_amdhsa_kernel
	.section	.text._Z18thread_load_kernelIjEvPT_S1_,"axG",@progbits,_Z18thread_load_kernelIjEvPT_S1_,comdat
.Lfunc_end9:
	.size	_Z18thread_load_kernelIjEvPT_S1_, .Lfunc_end9-_Z18thread_load_kernelIjEvPT_S1_
                                        ; -- End function
	.section	.AMDGPU.csdata,"",@progbits
; Kernel info:
; codeLenInByte = 468
; NumSgprs: 18
; NumVgprs: 8
; ScratchSize: 16
; MemoryBound: 0
; FloatMode: 240
; IeeeMode: 1
; LDSByteSize: 0 bytes/workgroup (compile time only)
; SGPRBlocks: 2
; VGPRBlocks: 0
; NumSGPRsForWavesPerEU: 18
; NumVGPRsForWavesPerEU: 8
; Occupancy: 16
; WaveLimiterHint : 1
; COMPUTE_PGM_RSRC2:SCRATCH_EN: 1
; COMPUTE_PGM_RSRC2:USER_SGPR: 15
; COMPUTE_PGM_RSRC2:TRAP_HANDLER: 0
; COMPUTE_PGM_RSRC2:TGID_X_EN: 1
; COMPUTE_PGM_RSRC2:TGID_Y_EN: 0
; COMPUTE_PGM_RSRC2:TGID_Z_EN: 0
; COMPUTE_PGM_RSRC2:TIDIG_COMP_CNT: 0
	.section	.text._Z18thread_load_kernelItEvPT_S1_,"axG",@progbits,_Z18thread_load_kernelItEvPT_S1_,comdat
	.protected	_Z18thread_load_kernelItEvPT_S1_ ; -- Begin function _Z18thread_load_kernelItEvPT_S1_
	.globl	_Z18thread_load_kernelItEvPT_S1_
	.p2align	8
	.type	_Z18thread_load_kernelItEvPT_S1_,@function
_Z18thread_load_kernelItEvPT_S1_:       ; @_Z18thread_load_kernelItEvPT_S1_
; %bb.0:
	s_load_b128 s[4:7], s[0:1], 0x0
	s_mov_b64 s[2:3], src_private_base
	s_mov_b32 s2, 0
	s_delay_alu instid0(SALU_CYCLE_1)
	v_dual_mov_b32 v4, s3 :: v_dual_mov_b32 v3, s2
	s_waitcnt lgkmcnt(0)
	v_dual_mov_b32 v1, s4 :: v_dual_mov_b32 v2, s5
	flat_store_b64 v[3:4], v[1:2] dlc
	s_waitcnt_vscnt null, 0x0
	flat_load_b64 v[2:3], v[3:4] glc dlc
	s_waitcnt vmcnt(0)
	s_load_b32 s0, s[0:1], 0x1c
	s_waitcnt lgkmcnt(0)
	s_and_b32 s0, s0, 0xffff
	s_delay_alu instid0(SALU_CYCLE_1) | instskip(NEXT) | instid1(VALU_DEP_1)
	v_mad_u64_u32 v[6:7], null, s15, s0, v[0:1]
	v_dual_mov_b32 v7, 0 :: v_dual_and_b32 v4, 7, v6
	s_delay_alu instid0(VALU_DEP_1) | instskip(SKIP_1) | instid1(VALU_DEP_2)
	v_lshlrev_b64 v[0:1], 1, v[6:7]
	v_mov_b32_e32 v5, v7
                                        ; implicit-def: $vgpr6
	v_add_co_u32 v2, s0, v2, v0
	s_delay_alu instid0(VALU_DEP_1) | instskip(SKIP_1) | instid1(VALU_DEP_3)
	v_add_co_ci_u32_e64 v3, s0, v3, v1, s0
	s_mov_b32 s0, exec_lo
	v_cmpx_lt_i64_e32 2, v[4:5]
	s_xor_b32 s0, exec_lo, s0
	s_cbranch_execz .LBB10_14
; %bb.1:
	s_mov_b32 s1, exec_lo
                                        ; implicit-def: $vgpr6
	v_cmpx_lt_i64_e32 3, v[4:5]
	s_xor_b32 s1, exec_lo, s1
	s_cbranch_execz .LBB10_11
; %bb.2:
	s_mov_b32 s2, exec_lo
                                        ; implicit-def: $vgpr6
	;; [unrolled: 6-line block ×3, first 2 shown]
	v_cmpx_ne_u64_e32 5, v[4:5]
	s_xor_b32 s3, exec_lo, s3
	s_cbranch_execz .LBB10_5
; %bb.4:
	flat_load_u16 v6, v[2:3] glc dlc
	s_waitcnt vmcnt(0)
                                        ; implicit-def: $vgpr2_vgpr3
.LBB10_5:
	s_and_not1_saveexec_b32 s3, s3
	s_cbranch_execz .LBB10_7
; %bb.6:
	s_waitcnt vmcnt(0) lgkmcnt(0)
	flat_load_u16 v6, v[2:3]
.LBB10_7:
	s_or_b32 exec_lo, exec_lo, s3
                                        ; implicit-def: $vgpr2_vgpr3
.LBB10_8:
	s_and_not1_saveexec_b32 s2, s2
	s_cbranch_execz .LBB10_10
; %bb.9:
	s_waitcnt vmcnt(0) lgkmcnt(0)
	flat_load_u16 v6, v[2:3] glc dlc
	s_waitcnt vmcnt(0)
.LBB10_10:
	s_or_b32 exec_lo, exec_lo, s2
                                        ; implicit-def: $vgpr2_vgpr3
.LBB10_11:
	s_and_not1_saveexec_b32 s1, s1
	s_cbranch_execz .LBB10_13
; %bb.12:
	s_waitcnt vmcnt(0) lgkmcnt(0)
	flat_load_u16 v6, v[2:3] slc dlc
.LBB10_13:
	s_or_b32 exec_lo, exec_lo, s1
                                        ; implicit-def: $vgpr2_vgpr3
                                        ; implicit-def: $vgpr4_vgpr5
.LBB10_14:
	s_and_not1_saveexec_b32 s0, s0
	s_cbranch_execz .LBB10_24
; %bb.15:
	s_mov_b32 s1, exec_lo
                                        ; implicit-def: $vgpr6
	v_cmpx_lt_i64_e32 0, v[4:5]
	s_xor_b32 s1, exec_lo, s1
	s_cbranch_execz .LBB10_21
; %bb.16:
	s_mov_b32 s2, exec_lo
                                        ; implicit-def: $vgpr6
	v_cmpx_lt_i64_e32 1, v[4:5]
	s_xor_b32 s2, exec_lo, s2
	s_cbranch_execz .LBB10_18
; %bb.17:
	s_waitcnt vmcnt(0) lgkmcnt(0)
	;;#ASMSTART
	flat_load_ushort v6, v[2:3] glc slc
	s_waitcnt(0)
	;;#ASMEND
                                        ; implicit-def: $vgpr2_vgpr3
.LBB10_18:
	s_and_not1_saveexec_b32 s2, s2
	s_cbranch_execz .LBB10_20
; %bb.19:
	s_waitcnt vmcnt(0) lgkmcnt(0)
	flat_load_u16 v6, v[2:3]
.LBB10_20:
	s_or_b32 exec_lo, exec_lo, s2
                                        ; implicit-def: $vgpr2_vgpr3
.LBB10_21:
	s_and_not1_saveexec_b32 s1, s1
	s_cbranch_execz .LBB10_23
; %bb.22:
	s_waitcnt vmcnt(0) lgkmcnt(0)
	flat_load_u16 v6, v[2:3]
.LBB10_23:
	s_or_b32 exec_lo, exec_lo, s1
.LBB10_24:
	s_delay_alu instid0(SALU_CYCLE_1)
	s_or_b32 exec_lo, exec_lo, s0
	v_add_co_u32 v0, vcc_lo, s6, v0
	v_add_co_ci_u32_e32 v1, vcc_lo, s7, v1, vcc_lo
	s_waitcnt vmcnt(0) lgkmcnt(0)
	global_store_b16 v[0:1], v6, off
	s_nop 0
	s_sendmsg sendmsg(MSG_DEALLOC_VGPRS)
	s_endpgm
	.section	.rodata,"a",@progbits
	.p2align	6, 0x0
	.amdhsa_kernel _Z18thread_load_kernelItEvPT_S1_
		.amdhsa_group_segment_fixed_size 0
		.amdhsa_private_segment_fixed_size 16
		.amdhsa_kernarg_size 272
		.amdhsa_user_sgpr_count 15
		.amdhsa_user_sgpr_dispatch_ptr 0
		.amdhsa_user_sgpr_queue_ptr 0
		.amdhsa_user_sgpr_kernarg_segment_ptr 1
		.amdhsa_user_sgpr_dispatch_id 0
		.amdhsa_user_sgpr_private_segment_size 0
		.amdhsa_wavefront_size32 1
		.amdhsa_uses_dynamic_stack 0
		.amdhsa_enable_private_segment 1
		.amdhsa_system_sgpr_workgroup_id_x 1
		.amdhsa_system_sgpr_workgroup_id_y 0
		.amdhsa_system_sgpr_workgroup_id_z 0
		.amdhsa_system_sgpr_workgroup_info 0
		.amdhsa_system_vgpr_workitem_id 0
		.amdhsa_next_free_vgpr 8
		.amdhsa_next_free_sgpr 16
		.amdhsa_reserve_vcc 1
		.amdhsa_float_round_mode_32 0
		.amdhsa_float_round_mode_16_64 0
		.amdhsa_float_denorm_mode_32 3
		.amdhsa_float_denorm_mode_16_64 3
		.amdhsa_dx10_clamp 1
		.amdhsa_ieee_mode 1
		.amdhsa_fp16_overflow 0
		.amdhsa_workgroup_processor_mode 1
		.amdhsa_memory_ordered 1
		.amdhsa_forward_progress 0
		.amdhsa_shared_vgpr_count 0
		.amdhsa_exception_fp_ieee_invalid_op 0
		.amdhsa_exception_fp_denorm_src 0
		.amdhsa_exception_fp_ieee_div_zero 0
		.amdhsa_exception_fp_ieee_overflow 0
		.amdhsa_exception_fp_ieee_underflow 0
		.amdhsa_exception_fp_ieee_inexact 0
		.amdhsa_exception_int_div_zero 0
	.end_amdhsa_kernel
	.section	.text._Z18thread_load_kernelItEvPT_S1_,"axG",@progbits,_Z18thread_load_kernelItEvPT_S1_,comdat
.Lfunc_end10:
	.size	_Z18thread_load_kernelItEvPT_S1_, .Lfunc_end10-_Z18thread_load_kernelItEvPT_S1_
                                        ; -- End function
	.section	.AMDGPU.csdata,"",@progbits
; Kernel info:
; codeLenInByte = 468
; NumSgprs: 18
; NumVgprs: 8
; ScratchSize: 16
; MemoryBound: 0
; FloatMode: 240
; IeeeMode: 1
; LDSByteSize: 0 bytes/workgroup (compile time only)
; SGPRBlocks: 2
; VGPRBlocks: 0
; NumSGPRsForWavesPerEU: 18
; NumVGPRsForWavesPerEU: 8
; Occupancy: 16
; WaveLimiterHint : 1
; COMPUTE_PGM_RSRC2:SCRATCH_EN: 1
; COMPUTE_PGM_RSRC2:USER_SGPR: 15
; COMPUTE_PGM_RSRC2:TRAP_HANDLER: 0
; COMPUTE_PGM_RSRC2:TGID_X_EN: 1
; COMPUTE_PGM_RSRC2:TGID_Y_EN: 0
; COMPUTE_PGM_RSRC2:TGID_Z_EN: 0
; COMPUTE_PGM_RSRC2:TIDIG_COMP_CNT: 0
	.section	.text._Z18thread_load_kernelIhEvPT_S1_,"axG",@progbits,_Z18thread_load_kernelIhEvPT_S1_,comdat
	.protected	_Z18thread_load_kernelIhEvPT_S1_ ; -- Begin function _Z18thread_load_kernelIhEvPT_S1_
	.globl	_Z18thread_load_kernelIhEvPT_S1_
	.p2align	8
	.type	_Z18thread_load_kernelIhEvPT_S1_,@function
_Z18thread_load_kernelIhEvPT_S1_:       ; @_Z18thread_load_kernelIhEvPT_S1_
; %bb.0:
	s_load_b128 s[4:7], s[0:1], 0x0
	s_mov_b64 s[2:3], src_private_base
	s_mov_b32 s2, 0
	s_delay_alu instid0(SALU_CYCLE_1)
	v_dual_mov_b32 v4, s3 :: v_dual_mov_b32 v3, s2
	s_waitcnt lgkmcnt(0)
	v_dual_mov_b32 v1, s4 :: v_dual_mov_b32 v2, s5
	flat_store_b64 v[3:4], v[1:2] dlc
	s_waitcnt_vscnt null, 0x0
	flat_load_b64 v[6:7], v[3:4] glc dlc
	s_waitcnt vmcnt(0)
	s_load_b32 s0, s[0:1], 0x1c
	s_waitcnt lgkmcnt(0)
	s_and_b32 s0, s0, 0xffff
	s_delay_alu instid0(SALU_CYCLE_1) | instskip(SKIP_1) | instid1(VALU_DEP_2)
	v_mad_u64_u32 v[1:2], null, s15, s0, v[0:1]
	v_mov_b32_e32 v5, 0
                                        ; implicit-def: $vgpr0
	v_and_b32_e32 v4, 7, v1
	v_add_co_u32 v2, s0, v6, v1
	s_delay_alu instid0(VALU_DEP_1) | instskip(SKIP_1) | instid1(VALU_DEP_3)
	v_add_co_ci_u32_e64 v3, s0, 0, v7, s0
	s_mov_b32 s0, exec_lo
	v_cmpx_lt_i64_e32 2, v[4:5]
	s_xor_b32 s0, exec_lo, s0
	s_cbranch_execz .LBB11_14
; %bb.1:
	s_mov_b32 s1, exec_lo
                                        ; implicit-def: $vgpr0
	v_cmpx_lt_i64_e32 3, v[4:5]
	s_xor_b32 s1, exec_lo, s1
	s_cbranch_execz .LBB11_11
; %bb.2:
	s_mov_b32 s2, exec_lo
                                        ; implicit-def: $vgpr0
	;; [unrolled: 6-line block ×3, first 2 shown]
	v_cmpx_ne_u64_e32 5, v[4:5]
	s_xor_b32 s3, exec_lo, s3
	s_cbranch_execz .LBB11_5
; %bb.4:
	flat_load_u8 v0, v[2:3] glc dlc
	s_waitcnt vmcnt(0)
                                        ; implicit-def: $vgpr2_vgpr3
.LBB11_5:
	s_and_not1_saveexec_b32 s3, s3
	s_cbranch_execz .LBB11_7
; %bb.6:
	s_waitcnt vmcnt(0) lgkmcnt(0)
	flat_load_u8 v0, v[2:3]
.LBB11_7:
	s_or_b32 exec_lo, exec_lo, s3
                                        ; implicit-def: $vgpr2_vgpr3
.LBB11_8:
	s_and_not1_saveexec_b32 s2, s2
	s_cbranch_execz .LBB11_10
; %bb.9:
	s_waitcnt vmcnt(0) lgkmcnt(0)
	flat_load_u8 v0, v[2:3] glc dlc
	s_waitcnt vmcnt(0)
.LBB11_10:
	s_or_b32 exec_lo, exec_lo, s2
                                        ; implicit-def: $vgpr2_vgpr3
.LBB11_11:
	s_and_not1_saveexec_b32 s1, s1
	s_cbranch_execz .LBB11_13
; %bb.12:
	s_waitcnt vmcnt(0) lgkmcnt(0)
	flat_load_u8 v0, v[2:3] slc dlc
.LBB11_13:
	s_or_b32 exec_lo, exec_lo, s1
                                        ; implicit-def: $vgpr2_vgpr3
                                        ; implicit-def: $vgpr4_vgpr5
.LBB11_14:
	s_and_not1_saveexec_b32 s0, s0
	s_cbranch_execz .LBB11_24
; %bb.15:
	s_mov_b32 s1, exec_lo
                                        ; implicit-def: $vgpr0
	v_cmpx_lt_i64_e32 0, v[4:5]
	s_xor_b32 s1, exec_lo, s1
	s_cbranch_execz .LBB11_21
; %bb.16:
	s_mov_b32 s2, exec_lo
                                        ; implicit-def: $vgpr0
	v_cmpx_lt_i64_e32 1, v[4:5]
	s_xor_b32 s2, exec_lo, s2
	s_cbranch_execz .LBB11_18
; %bb.17:
	s_waitcnt vmcnt(0) lgkmcnt(0)
	;;#ASMSTART
	flat_load_ubyte v0, v[2:3] glc slc
	s_waitcnt(0)
	;;#ASMEND
                                        ; implicit-def: $vgpr2_vgpr3
.LBB11_18:
	s_and_not1_saveexec_b32 s2, s2
	s_cbranch_execz .LBB11_20
; %bb.19:
	s_waitcnt vmcnt(0) lgkmcnt(0)
	flat_load_u8 v0, v[2:3]
.LBB11_20:
	s_or_b32 exec_lo, exec_lo, s2
                                        ; implicit-def: $vgpr2_vgpr3
.LBB11_21:
	s_and_not1_saveexec_b32 s1, s1
	s_cbranch_execz .LBB11_23
; %bb.22:
	s_waitcnt vmcnt(0) lgkmcnt(0)
	flat_load_u8 v0, v[2:3]
.LBB11_23:
	s_or_b32 exec_lo, exec_lo, s1
.LBB11_24:
	s_delay_alu instid0(SALU_CYCLE_1) | instskip(SKIP_1) | instid1(VALU_DEP_1)
	s_or_b32 exec_lo, exec_lo, s0
	v_add_co_u32 v1, s0, s6, v1
	v_add_co_ci_u32_e64 v2, null, s7, 0, s0
	s_waitcnt vmcnt(0) lgkmcnt(0)
	global_store_b8 v[1:2], v0, off
	s_nop 0
	s_sendmsg sendmsg(MSG_DEALLOC_VGPRS)
	s_endpgm
	.section	.rodata,"a",@progbits
	.p2align	6, 0x0
	.amdhsa_kernel _Z18thread_load_kernelIhEvPT_S1_
		.amdhsa_group_segment_fixed_size 0
		.amdhsa_private_segment_fixed_size 16
		.amdhsa_kernarg_size 272
		.amdhsa_user_sgpr_count 15
		.amdhsa_user_sgpr_dispatch_ptr 0
		.amdhsa_user_sgpr_queue_ptr 0
		.amdhsa_user_sgpr_kernarg_segment_ptr 1
		.amdhsa_user_sgpr_dispatch_id 0
		.amdhsa_user_sgpr_private_segment_size 0
		.amdhsa_wavefront_size32 1
		.amdhsa_uses_dynamic_stack 0
		.amdhsa_enable_private_segment 1
		.amdhsa_system_sgpr_workgroup_id_x 1
		.amdhsa_system_sgpr_workgroup_id_y 0
		.amdhsa_system_sgpr_workgroup_id_z 0
		.amdhsa_system_sgpr_workgroup_info 0
		.amdhsa_system_vgpr_workitem_id 0
		.amdhsa_next_free_vgpr 8
		.amdhsa_next_free_sgpr 16
		.amdhsa_reserve_vcc 0
		.amdhsa_float_round_mode_32 0
		.amdhsa_float_round_mode_16_64 0
		.amdhsa_float_denorm_mode_32 3
		.amdhsa_float_denorm_mode_16_64 3
		.amdhsa_dx10_clamp 1
		.amdhsa_ieee_mode 1
		.amdhsa_fp16_overflow 0
		.amdhsa_workgroup_processor_mode 1
		.amdhsa_memory_ordered 1
		.amdhsa_forward_progress 0
		.amdhsa_shared_vgpr_count 0
		.amdhsa_exception_fp_ieee_invalid_op 0
		.amdhsa_exception_fp_denorm_src 0
		.amdhsa_exception_fp_ieee_div_zero 0
		.amdhsa_exception_fp_ieee_overflow 0
		.amdhsa_exception_fp_ieee_underflow 0
		.amdhsa_exception_fp_ieee_inexact 0
		.amdhsa_exception_int_div_zero 0
	.end_amdhsa_kernel
	.section	.text._Z18thread_load_kernelIhEvPT_S1_,"axG",@progbits,_Z18thread_load_kernelIhEvPT_S1_,comdat
.Lfunc_end11:
	.size	_Z18thread_load_kernelIhEvPT_S1_, .Lfunc_end11-_Z18thread_load_kernelIhEvPT_S1_
                                        ; -- End function
	.section	.AMDGPU.csdata,"",@progbits
; Kernel info:
; codeLenInByte = 456
; NumSgprs: 16
; NumVgprs: 8
; ScratchSize: 16
; MemoryBound: 0
; FloatMode: 240
; IeeeMode: 1
; LDSByteSize: 0 bytes/workgroup (compile time only)
; SGPRBlocks: 1
; VGPRBlocks: 0
; NumSGPRsForWavesPerEU: 16
; NumVGPRsForWavesPerEU: 8
; Occupancy: 16
; WaveLimiterHint : 1
; COMPUTE_PGM_RSRC2:SCRATCH_EN: 1
; COMPUTE_PGM_RSRC2:USER_SGPR: 15
; COMPUTE_PGM_RSRC2:TRAP_HANDLER: 0
; COMPUTE_PGM_RSRC2:TGID_X_EN: 1
; COMPUTE_PGM_RSRC2:TGID_Y_EN: 0
; COMPUTE_PGM_RSRC2:TGID_Z_EN: 0
; COMPUTE_PGM_RSRC2:TIDIG_COMP_CNT: 0
	.section	.text._Z25thread_copy_unroll_kernelILj4EoEvPT0_S1_,"axG",@progbits,_Z25thread_copy_unroll_kernelILj4EoEvPT0_S1_,comdat
	.protected	_Z25thread_copy_unroll_kernelILj4EoEvPT0_S1_ ; -- Begin function _Z25thread_copy_unroll_kernelILj4EoEvPT0_S1_
	.globl	_Z25thread_copy_unroll_kernelILj4EoEvPT0_S1_
	.p2align	8
	.type	_Z25thread_copy_unroll_kernelILj4EoEvPT0_S1_,@function
_Z25thread_copy_unroll_kernelILj4EoEvPT0_S1_: ; @_Z25thread_copy_unroll_kernelILj4EoEvPT0_S1_
; %bb.0:
	s_clause 0x1
	s_load_b32 s4, s[0:1], 0x1c
	s_load_b128 s[0:3], s[0:1], 0x0
	s_waitcnt lgkmcnt(0)
	s_and_b32 s4, s4, 0xffff
	s_delay_alu instid0(SALU_CYCLE_1) | instskip(SKIP_1) | instid1(VALU_DEP_1)
	v_mad_u64_u32 v[1:2], null, s15, s4, v[0:1]
	v_mov_b32_e32 v2, 0
	v_lshlrev_b64 v[4:5], 6, v[1:2]
	s_delay_alu instid0(VALU_DEP_1) | instskip(NEXT) | instid1(VALU_DEP_2)
	v_add_co_u32 v6, vcc_lo, s0, v4
	v_add_co_ci_u32_e32 v7, vcc_lo, s1, v5, vcc_lo
	v_add_co_u32 v4, vcc_lo, s2, v4
	v_add_co_ci_u32_e32 v5, vcc_lo, s3, v5, vcc_lo
	global_load_b128 v[0:3], v[6:7], off
	s_waitcnt vmcnt(0)
	global_store_b128 v[4:5], v[0:3], off
	global_load_b128 v[0:3], v[6:7], off offset:16
	s_waitcnt vmcnt(0)
	global_store_b128 v[4:5], v[0:3], off offset:16
	global_load_b128 v[0:3], v[6:7], off offset:32
	s_waitcnt vmcnt(0)
	global_store_b128 v[4:5], v[0:3], off offset:32
	;; [unrolled: 3-line block ×3, first 2 shown]
	s_nop 0
	s_sendmsg sendmsg(MSG_DEALLOC_VGPRS)
	s_endpgm
	.section	.rodata,"a",@progbits
	.p2align	6, 0x0
	.amdhsa_kernel _Z25thread_copy_unroll_kernelILj4EoEvPT0_S1_
		.amdhsa_group_segment_fixed_size 0
		.amdhsa_private_segment_fixed_size 0
		.amdhsa_kernarg_size 272
		.amdhsa_user_sgpr_count 15
		.amdhsa_user_sgpr_dispatch_ptr 0
		.amdhsa_user_sgpr_queue_ptr 0
		.amdhsa_user_sgpr_kernarg_segment_ptr 1
		.amdhsa_user_sgpr_dispatch_id 0
		.amdhsa_user_sgpr_private_segment_size 0
		.amdhsa_wavefront_size32 1
		.amdhsa_uses_dynamic_stack 0
		.amdhsa_enable_private_segment 0
		.amdhsa_system_sgpr_workgroup_id_x 1
		.amdhsa_system_sgpr_workgroup_id_y 0
		.amdhsa_system_sgpr_workgroup_id_z 0
		.amdhsa_system_sgpr_workgroup_info 0
		.amdhsa_system_vgpr_workitem_id 0
		.amdhsa_next_free_vgpr 8
		.amdhsa_next_free_sgpr 16
		.amdhsa_reserve_vcc 1
		.amdhsa_float_round_mode_32 0
		.amdhsa_float_round_mode_16_64 0
		.amdhsa_float_denorm_mode_32 3
		.amdhsa_float_denorm_mode_16_64 3
		.amdhsa_dx10_clamp 1
		.amdhsa_ieee_mode 1
		.amdhsa_fp16_overflow 0
		.amdhsa_workgroup_processor_mode 1
		.amdhsa_memory_ordered 1
		.amdhsa_forward_progress 0
		.amdhsa_shared_vgpr_count 0
		.amdhsa_exception_fp_ieee_invalid_op 0
		.amdhsa_exception_fp_denorm_src 0
		.amdhsa_exception_fp_ieee_div_zero 0
		.amdhsa_exception_fp_ieee_overflow 0
		.amdhsa_exception_fp_ieee_underflow 0
		.amdhsa_exception_fp_ieee_inexact 0
		.amdhsa_exception_int_div_zero 0
	.end_amdhsa_kernel
	.section	.text._Z25thread_copy_unroll_kernelILj4EoEvPT0_S1_,"axG",@progbits,_Z25thread_copy_unroll_kernelILj4EoEvPT0_S1_,comdat
.Lfunc_end12:
	.size	_Z25thread_copy_unroll_kernelILj4EoEvPT0_S1_, .Lfunc_end12-_Z25thread_copy_unroll_kernelILj4EoEvPT0_S1_
                                        ; -- End function
	.section	.AMDGPU.csdata,"",@progbits
; Kernel info:
; codeLenInByte = 176
; NumSgprs: 18
; NumVgprs: 8
; ScratchSize: 0
; MemoryBound: 1
; FloatMode: 240
; IeeeMode: 1
; LDSByteSize: 0 bytes/workgroup (compile time only)
; SGPRBlocks: 2
; VGPRBlocks: 0
; NumSGPRsForWavesPerEU: 18
; NumVGPRsForWavesPerEU: 8
; Occupancy: 16
; WaveLimiterHint : 1
; COMPUTE_PGM_RSRC2:SCRATCH_EN: 0
; COMPUTE_PGM_RSRC2:USER_SGPR: 15
; COMPUTE_PGM_RSRC2:TRAP_HANDLER: 0
; COMPUTE_PGM_RSRC2:TGID_X_EN: 1
; COMPUTE_PGM_RSRC2:TGID_Y_EN: 0
; COMPUTE_PGM_RSRC2:TGID_Z_EN: 0
; COMPUTE_PGM_RSRC2:TIDIG_COMP_CNT: 0
	.section	.text._Z25thread_copy_unroll_kernelILj4EN6common11custom_typeIddLb1EEEEvPT0_S4_,"axG",@progbits,_Z25thread_copy_unroll_kernelILj4EN6common11custom_typeIddLb1EEEEvPT0_S4_,comdat
	.protected	_Z25thread_copy_unroll_kernelILj4EN6common11custom_typeIddLb1EEEEvPT0_S4_ ; -- Begin function _Z25thread_copy_unroll_kernelILj4EN6common11custom_typeIddLb1EEEEvPT0_S4_
	.globl	_Z25thread_copy_unroll_kernelILj4EN6common11custom_typeIddLb1EEEEvPT0_S4_
	.p2align	8
	.type	_Z25thread_copy_unroll_kernelILj4EN6common11custom_typeIddLb1EEEEvPT0_S4_,@function
_Z25thread_copy_unroll_kernelILj4EN6common11custom_typeIddLb1EEEEvPT0_S4_: ; @_Z25thread_copy_unroll_kernelILj4EN6common11custom_typeIddLb1EEEEvPT0_S4_
; %bb.0:
	s_clause 0x1
	s_load_b32 s4, s[0:1], 0x1c
	s_load_b128 s[0:3], s[0:1], 0x0
	s_waitcnt lgkmcnt(0)
	s_and_b32 s4, s4, 0xffff
	s_delay_alu instid0(SALU_CYCLE_1) | instskip(SKIP_1) | instid1(VALU_DEP_1)
	v_mad_u64_u32 v[2:3], null, s15, s4, v[0:1]
	v_mov_b32_e32 v3, 0
	v_lshlrev_b64 v[4:5], 6, v[2:3]
	v_and_b32_e32 v2, 1, v2
	s_delay_alu instid0(VALU_DEP_2) | instskip(NEXT) | instid1(VALU_DEP_3)
	v_add_co_u32 v0, vcc_lo, s0, v4
	v_add_co_ci_u32_e32 v1, vcc_lo, s1, v5, vcc_lo
	v_add_co_u32 v4, vcc_lo, s2, v4
	v_add_co_ci_u32_e32 v5, vcc_lo, s3, v5, vcc_lo
	global_load_b128 v[6:9], v[0:1], off
	v_cmp_eq_u32_e32 vcc_lo, 1, v2
                                        ; implicit-def: $vgpr2_vgpr3
	s_waitcnt vmcnt(0)
	global_store_b128 v[4:5], v[6:9], off
	s_and_saveexec_b32 s0, vcc_lo
	s_delay_alu instid0(SALU_CYCLE_1)
	s_xor_b32 s0, exec_lo, s0
	s_cbranch_execnz .LBB13_3
; %bb.1:
	s_and_not1_saveexec_b32 s0, s0
	s_cbranch_execnz .LBB13_4
.LBB13_2:
	s_or_b32 exec_lo, exec_lo, s0
	global_store_b64 v[4:5], v[2:3], off offset:56
	s_nop 0
	s_sendmsg sendmsg(MSG_DEALLOC_VGPRS)
	s_endpgm
.LBB13_3:
	s_clause 0x2
	global_load_b128 v[6:9], v[0:1], off offset:16
	global_load_b128 v[10:13], v[0:1], off offset:32
	;; [unrolled: 1-line block ×3, first 2 shown]
	s_waitcnt vmcnt(2)
	global_store_b128 v[4:5], v[6:9], off offset:16
	s_waitcnt vmcnt(1)
	global_store_b128 v[4:5], v[10:13], off offset:32
	s_waitcnt vmcnt(0)
	global_store_b64 v[4:5], v[0:1], off offset:48
                                        ; implicit-def: $vgpr0_vgpr1
	s_and_not1_saveexec_b32 s0, s0
	s_cbranch_execz .LBB13_2
.LBB13_4:
	global_load_b128 v[6:9], v[0:1], off offset:16
	s_waitcnt vmcnt(0)
	global_store_b128 v[4:5], v[6:9], off offset:16
	global_load_b128 v[6:9], v[0:1], off offset:32
	s_waitcnt vmcnt(0)
	global_store_b128 v[4:5], v[6:9], off offset:32
	global_load_b128 v[0:3], v[0:1], off offset:48
	s_waitcnt vmcnt(0)
	global_store_b64 v[4:5], v[0:1], off offset:48
	s_or_b32 exec_lo, exec_lo, s0
	global_store_b64 v[4:5], v[2:3], off offset:56
	s_nop 0
	s_sendmsg sendmsg(MSG_DEALLOC_VGPRS)
	s_endpgm
	.section	.rodata,"a",@progbits
	.p2align	6, 0x0
	.amdhsa_kernel _Z25thread_copy_unroll_kernelILj4EN6common11custom_typeIddLb1EEEEvPT0_S4_
		.amdhsa_group_segment_fixed_size 0
		.amdhsa_private_segment_fixed_size 0
		.amdhsa_kernarg_size 272
		.amdhsa_user_sgpr_count 15
		.amdhsa_user_sgpr_dispatch_ptr 0
		.amdhsa_user_sgpr_queue_ptr 0
		.amdhsa_user_sgpr_kernarg_segment_ptr 1
		.amdhsa_user_sgpr_dispatch_id 0
		.amdhsa_user_sgpr_private_segment_size 0
		.amdhsa_wavefront_size32 1
		.amdhsa_uses_dynamic_stack 0
		.amdhsa_enable_private_segment 0
		.amdhsa_system_sgpr_workgroup_id_x 1
		.amdhsa_system_sgpr_workgroup_id_y 0
		.amdhsa_system_sgpr_workgroup_id_z 0
		.amdhsa_system_sgpr_workgroup_info 0
		.amdhsa_system_vgpr_workitem_id 0
		.amdhsa_next_free_vgpr 14
		.amdhsa_next_free_sgpr 16
		.amdhsa_reserve_vcc 1
		.amdhsa_float_round_mode_32 0
		.amdhsa_float_round_mode_16_64 0
		.amdhsa_float_denorm_mode_32 3
		.amdhsa_float_denorm_mode_16_64 3
		.amdhsa_dx10_clamp 1
		.amdhsa_ieee_mode 1
		.amdhsa_fp16_overflow 0
		.amdhsa_workgroup_processor_mode 1
		.amdhsa_memory_ordered 1
		.amdhsa_forward_progress 0
		.amdhsa_shared_vgpr_count 0
		.amdhsa_exception_fp_ieee_invalid_op 0
		.amdhsa_exception_fp_denorm_src 0
		.amdhsa_exception_fp_ieee_div_zero 0
		.amdhsa_exception_fp_ieee_overflow 0
		.amdhsa_exception_fp_ieee_underflow 0
		.amdhsa_exception_fp_ieee_inexact 0
		.amdhsa_exception_int_div_zero 0
	.end_amdhsa_kernel
	.section	.text._Z25thread_copy_unroll_kernelILj4EN6common11custom_typeIddLb1EEEEvPT0_S4_,"axG",@progbits,_Z25thread_copy_unroll_kernelILj4EN6common11custom_typeIddLb1EEEEvPT0_S4_,comdat
.Lfunc_end13:
	.size	_Z25thread_copy_unroll_kernelILj4EN6common11custom_typeIddLb1EEEEvPT0_S4_, .Lfunc_end13-_Z25thread_copy_unroll_kernelILj4EN6common11custom_typeIddLb1EEEEvPT0_S4_
                                        ; -- End function
	.section	.AMDGPU.csdata,"",@progbits
; Kernel info:
; codeLenInByte = 316
; NumSgprs: 18
; NumVgprs: 14
; ScratchSize: 0
; MemoryBound: 1
; FloatMode: 240
; IeeeMode: 1
; LDSByteSize: 0 bytes/workgroup (compile time only)
; SGPRBlocks: 2
; VGPRBlocks: 1
; NumSGPRsForWavesPerEU: 18
; NumVGPRsForWavesPerEU: 14
; Occupancy: 16
; WaveLimiterHint : 1
; COMPUTE_PGM_RSRC2:SCRATCH_EN: 0
; COMPUTE_PGM_RSRC2:USER_SGPR: 15
; COMPUTE_PGM_RSRC2:TRAP_HANDLER: 0
; COMPUTE_PGM_RSRC2:TGID_X_EN: 1
; COMPUTE_PGM_RSRC2:TGID_Y_EN: 0
; COMPUTE_PGM_RSRC2:TGID_Z_EN: 0
; COMPUTE_PGM_RSRC2:TIDIG_COMP_CNT: 0
	.section	.text._Z25thread_copy_unroll_kernelILj4EN6common11custom_typeImmLb1EEEEvPT0_S4_,"axG",@progbits,_Z25thread_copy_unroll_kernelILj4EN6common11custom_typeImmLb1EEEEvPT0_S4_,comdat
	.protected	_Z25thread_copy_unroll_kernelILj4EN6common11custom_typeImmLb1EEEEvPT0_S4_ ; -- Begin function _Z25thread_copy_unroll_kernelILj4EN6common11custom_typeImmLb1EEEEvPT0_S4_
	.globl	_Z25thread_copy_unroll_kernelILj4EN6common11custom_typeImmLb1EEEEvPT0_S4_
	.p2align	8
	.type	_Z25thread_copy_unroll_kernelILj4EN6common11custom_typeImmLb1EEEEvPT0_S4_,@function
_Z25thread_copy_unroll_kernelILj4EN6common11custom_typeImmLb1EEEEvPT0_S4_: ; @_Z25thread_copy_unroll_kernelILj4EN6common11custom_typeImmLb1EEEEvPT0_S4_
; %bb.0:
	s_clause 0x1
	s_load_b32 s4, s[0:1], 0x1c
	s_load_b128 s[0:3], s[0:1], 0x0
	s_waitcnt lgkmcnt(0)
	s_and_b32 s4, s4, 0xffff
	s_delay_alu instid0(SALU_CYCLE_1) | instskip(SKIP_1) | instid1(VALU_DEP_1)
	v_mad_u64_u32 v[2:3], null, s15, s4, v[0:1]
	v_mov_b32_e32 v3, 0
	v_lshlrev_b64 v[4:5], 6, v[2:3]
	v_and_b32_e32 v2, 1, v2
	s_delay_alu instid0(VALU_DEP_2) | instskip(NEXT) | instid1(VALU_DEP_3)
	v_add_co_u32 v0, vcc_lo, s0, v4
	v_add_co_ci_u32_e32 v1, vcc_lo, s1, v5, vcc_lo
	v_add_co_u32 v4, vcc_lo, s2, v4
	v_add_co_ci_u32_e32 v5, vcc_lo, s3, v5, vcc_lo
	global_load_b128 v[6:9], v[0:1], off
	v_cmp_eq_u32_e32 vcc_lo, 1, v2
                                        ; implicit-def: $vgpr2_vgpr3
	s_waitcnt vmcnt(0)
	global_store_b128 v[4:5], v[6:9], off
	s_and_saveexec_b32 s0, vcc_lo
	s_delay_alu instid0(SALU_CYCLE_1)
	s_xor_b32 s0, exec_lo, s0
	s_cbranch_execnz .LBB14_3
; %bb.1:
	s_and_not1_saveexec_b32 s0, s0
	s_cbranch_execnz .LBB14_4
.LBB14_2:
	s_or_b32 exec_lo, exec_lo, s0
	global_store_b64 v[4:5], v[2:3], off offset:56
	s_nop 0
	s_sendmsg sendmsg(MSG_DEALLOC_VGPRS)
	s_endpgm
.LBB14_3:
	global_load_b128 v[6:9], v[0:1], off offset:16
	s_waitcnt vmcnt(0)
	global_store_b128 v[4:5], v[6:9], off offset:16
	global_load_b128 v[6:9], v[0:1], off offset:32
	s_waitcnt vmcnt(0)
	global_store_b128 v[4:5], v[6:9], off offset:32
	global_load_b128 v[0:3], v[0:1], off offset:48
	s_waitcnt vmcnt(0)
	global_store_b64 v[4:5], v[0:1], off offset:48
                                        ; implicit-def: $vgpr0_vgpr1
	s_and_not1_saveexec_b32 s0, s0
	s_cbranch_execz .LBB14_2
.LBB14_4:
	global_load_b128 v[6:9], v[0:1], off offset:16
	s_waitcnt vmcnt(0)
	global_store_b128 v[4:5], v[6:9], off offset:16
	global_load_b128 v[6:9], v[0:1], off offset:32
	s_waitcnt vmcnt(0)
	global_store_b128 v[4:5], v[6:9], off offset:32
	global_load_b128 v[0:3], v[0:1], off offset:48
	s_waitcnt vmcnt(0)
	global_store_b64 v[4:5], v[0:1], off offset:48
	s_or_b32 exec_lo, exec_lo, s0
	global_store_b64 v[4:5], v[2:3], off offset:56
	s_nop 0
	s_sendmsg sendmsg(MSG_DEALLOC_VGPRS)
	s_endpgm
	.section	.rodata,"a",@progbits
	.p2align	6, 0x0
	.amdhsa_kernel _Z25thread_copy_unroll_kernelILj4EN6common11custom_typeImmLb1EEEEvPT0_S4_
		.amdhsa_group_segment_fixed_size 0
		.amdhsa_private_segment_fixed_size 0
		.amdhsa_kernarg_size 272
		.amdhsa_user_sgpr_count 15
		.amdhsa_user_sgpr_dispatch_ptr 0
		.amdhsa_user_sgpr_queue_ptr 0
		.amdhsa_user_sgpr_kernarg_segment_ptr 1
		.amdhsa_user_sgpr_dispatch_id 0
		.amdhsa_user_sgpr_private_segment_size 0
		.amdhsa_wavefront_size32 1
		.amdhsa_uses_dynamic_stack 0
		.amdhsa_enable_private_segment 0
		.amdhsa_system_sgpr_workgroup_id_x 1
		.amdhsa_system_sgpr_workgroup_id_y 0
		.amdhsa_system_sgpr_workgroup_id_z 0
		.amdhsa_system_sgpr_workgroup_info 0
		.amdhsa_system_vgpr_workitem_id 0
		.amdhsa_next_free_vgpr 10
		.amdhsa_next_free_sgpr 16
		.amdhsa_reserve_vcc 1
		.amdhsa_float_round_mode_32 0
		.amdhsa_float_round_mode_16_64 0
		.amdhsa_float_denorm_mode_32 3
		.amdhsa_float_denorm_mode_16_64 3
		.amdhsa_dx10_clamp 1
		.amdhsa_ieee_mode 1
		.amdhsa_fp16_overflow 0
		.amdhsa_workgroup_processor_mode 1
		.amdhsa_memory_ordered 1
		.amdhsa_forward_progress 0
		.amdhsa_shared_vgpr_count 0
		.amdhsa_exception_fp_ieee_invalid_op 0
		.amdhsa_exception_fp_denorm_src 0
		.amdhsa_exception_fp_ieee_div_zero 0
		.amdhsa_exception_fp_ieee_overflow 0
		.amdhsa_exception_fp_ieee_underflow 0
		.amdhsa_exception_fp_ieee_inexact 0
		.amdhsa_exception_int_div_zero 0
	.end_amdhsa_kernel
	.section	.text._Z25thread_copy_unroll_kernelILj4EN6common11custom_typeImmLb1EEEEvPT0_S4_,"axG",@progbits,_Z25thread_copy_unroll_kernelILj4EN6common11custom_typeImmLb1EEEEvPT0_S4_,comdat
.Lfunc_end14:
	.size	_Z25thread_copy_unroll_kernelILj4EN6common11custom_typeImmLb1EEEEvPT0_S4_, .Lfunc_end14-_Z25thread_copy_unroll_kernelILj4EN6common11custom_typeImmLb1EEEEvPT0_S4_
                                        ; -- End function
	.section	.AMDGPU.csdata,"",@progbits
; Kernel info:
; codeLenInByte = 312
; NumSgprs: 18
; NumVgprs: 10
; ScratchSize: 0
; MemoryBound: 1
; FloatMode: 240
; IeeeMode: 1
; LDSByteSize: 0 bytes/workgroup (compile time only)
; SGPRBlocks: 2
; VGPRBlocks: 1
; NumSGPRsForWavesPerEU: 18
; NumVGPRsForWavesPerEU: 10
; Occupancy: 16
; WaveLimiterHint : 1
; COMPUTE_PGM_RSRC2:SCRATCH_EN: 0
; COMPUTE_PGM_RSRC2:USER_SGPR: 15
; COMPUTE_PGM_RSRC2:TRAP_HANDLER: 0
; COMPUTE_PGM_RSRC2:TGID_X_EN: 1
; COMPUTE_PGM_RSRC2:TGID_Y_EN: 0
; COMPUTE_PGM_RSRC2:TGID_Z_EN: 0
; COMPUTE_PGM_RSRC2:TIDIG_COMP_CNT: 0
	.section	.text._Z25thread_copy_unroll_kernelILj4EdEvPT0_S1_,"axG",@progbits,_Z25thread_copy_unroll_kernelILj4EdEvPT0_S1_,comdat
	.protected	_Z25thread_copy_unroll_kernelILj4EdEvPT0_S1_ ; -- Begin function _Z25thread_copy_unroll_kernelILj4EdEvPT0_S1_
	.globl	_Z25thread_copy_unroll_kernelILj4EdEvPT0_S1_
	.p2align	8
	.type	_Z25thread_copy_unroll_kernelILj4EdEvPT0_S1_,@function
_Z25thread_copy_unroll_kernelILj4EdEvPT0_S1_: ; @_Z25thread_copy_unroll_kernelILj4EdEvPT0_S1_
; %bb.0:
	s_clause 0x1
	s_load_b32 s4, s[0:1], 0x1c
	s_load_b128 s[0:3], s[0:1], 0x0
	s_waitcnt lgkmcnt(0)
	s_and_b32 s4, s4, 0xffff
	s_delay_alu instid0(SALU_CYCLE_1) | instskip(SKIP_1) | instid1(VALU_DEP_1)
	v_mad_u64_u32 v[1:2], null, s15, s4, v[0:1]
	v_mov_b32_e32 v2, 0
	v_lshlrev_b64 v[0:1], 5, v[1:2]
	s_delay_alu instid0(VALU_DEP_1) | instskip(NEXT) | instid1(VALU_DEP_2)
	v_add_co_u32 v2, vcc_lo, s0, v0
	v_add_co_ci_u32_e32 v3, vcc_lo, s1, v1, vcc_lo
	v_add_co_u32 v0, vcc_lo, s2, v0
	v_add_co_ci_u32_e32 v1, vcc_lo, s3, v1, vcc_lo
	global_load_b64 v[4:5], v[2:3], off
	s_waitcnt vmcnt(0)
	global_store_b64 v[0:1], v[4:5], off
	global_load_b64 v[4:5], v[2:3], off offset:8
	s_waitcnt vmcnt(0)
	global_store_b64 v[0:1], v[4:5], off offset:8
	global_load_b64 v[4:5], v[2:3], off offset:16
	s_waitcnt vmcnt(0)
	global_store_b64 v[0:1], v[4:5], off offset:16
	;; [unrolled: 3-line block ×3, first 2 shown]
	s_nop 0
	s_sendmsg sendmsg(MSG_DEALLOC_VGPRS)
	s_endpgm
	.section	.rodata,"a",@progbits
	.p2align	6, 0x0
	.amdhsa_kernel _Z25thread_copy_unroll_kernelILj4EdEvPT0_S1_
		.amdhsa_group_segment_fixed_size 0
		.amdhsa_private_segment_fixed_size 0
		.amdhsa_kernarg_size 272
		.amdhsa_user_sgpr_count 15
		.amdhsa_user_sgpr_dispatch_ptr 0
		.amdhsa_user_sgpr_queue_ptr 0
		.amdhsa_user_sgpr_kernarg_segment_ptr 1
		.amdhsa_user_sgpr_dispatch_id 0
		.amdhsa_user_sgpr_private_segment_size 0
		.amdhsa_wavefront_size32 1
		.amdhsa_uses_dynamic_stack 0
		.amdhsa_enable_private_segment 0
		.amdhsa_system_sgpr_workgroup_id_x 1
		.amdhsa_system_sgpr_workgroup_id_y 0
		.amdhsa_system_sgpr_workgroup_id_z 0
		.amdhsa_system_sgpr_workgroup_info 0
		.amdhsa_system_vgpr_workitem_id 0
		.amdhsa_next_free_vgpr 6
		.amdhsa_next_free_sgpr 16
		.amdhsa_reserve_vcc 1
		.amdhsa_float_round_mode_32 0
		.amdhsa_float_round_mode_16_64 0
		.amdhsa_float_denorm_mode_32 3
		.amdhsa_float_denorm_mode_16_64 3
		.amdhsa_dx10_clamp 1
		.amdhsa_ieee_mode 1
		.amdhsa_fp16_overflow 0
		.amdhsa_workgroup_processor_mode 1
		.amdhsa_memory_ordered 1
		.amdhsa_forward_progress 0
		.amdhsa_shared_vgpr_count 0
		.amdhsa_exception_fp_ieee_invalid_op 0
		.amdhsa_exception_fp_denorm_src 0
		.amdhsa_exception_fp_ieee_div_zero 0
		.amdhsa_exception_fp_ieee_overflow 0
		.amdhsa_exception_fp_ieee_underflow 0
		.amdhsa_exception_fp_ieee_inexact 0
		.amdhsa_exception_int_div_zero 0
	.end_amdhsa_kernel
	.section	.text._Z25thread_copy_unroll_kernelILj4EdEvPT0_S1_,"axG",@progbits,_Z25thread_copy_unroll_kernelILj4EdEvPT0_S1_,comdat
.Lfunc_end15:
	.size	_Z25thread_copy_unroll_kernelILj4EdEvPT0_S1_, .Lfunc_end15-_Z25thread_copy_unroll_kernelILj4EdEvPT0_S1_
                                        ; -- End function
	.section	.AMDGPU.csdata,"",@progbits
; Kernel info:
; codeLenInByte = 176
; NumSgprs: 18
; NumVgprs: 6
; ScratchSize: 0
; MemoryBound: 1
; FloatMode: 240
; IeeeMode: 1
; LDSByteSize: 0 bytes/workgroup (compile time only)
; SGPRBlocks: 2
; VGPRBlocks: 0
; NumSGPRsForWavesPerEU: 18
; NumVGPRsForWavesPerEU: 6
; Occupancy: 16
; WaveLimiterHint : 1
; COMPUTE_PGM_RSRC2:SCRATCH_EN: 0
; COMPUTE_PGM_RSRC2:USER_SGPR: 15
; COMPUTE_PGM_RSRC2:TRAP_HANDLER: 0
; COMPUTE_PGM_RSRC2:TGID_X_EN: 1
; COMPUTE_PGM_RSRC2:TGID_Y_EN: 0
; COMPUTE_PGM_RSRC2:TGID_Z_EN: 0
; COMPUTE_PGM_RSRC2:TIDIG_COMP_CNT: 0
	.section	.text._Z25thread_copy_unroll_kernelILj4EfEvPT0_S1_,"axG",@progbits,_Z25thread_copy_unroll_kernelILj4EfEvPT0_S1_,comdat
	.protected	_Z25thread_copy_unroll_kernelILj4EfEvPT0_S1_ ; -- Begin function _Z25thread_copy_unroll_kernelILj4EfEvPT0_S1_
	.globl	_Z25thread_copy_unroll_kernelILj4EfEvPT0_S1_
	.p2align	8
	.type	_Z25thread_copy_unroll_kernelILj4EfEvPT0_S1_,@function
_Z25thread_copy_unroll_kernelILj4EfEvPT0_S1_: ; @_Z25thread_copy_unroll_kernelILj4EfEvPT0_S1_
; %bb.0:
	s_clause 0x1
	s_load_b32 s4, s[0:1], 0x1c
	s_load_b128 s[0:3], s[0:1], 0x0
	s_waitcnt lgkmcnt(0)
	s_and_b32 s4, s4, 0xffff
	s_delay_alu instid0(SALU_CYCLE_1) | instskip(SKIP_1) | instid1(VALU_DEP_1)
	v_mad_u64_u32 v[1:2], null, s15, s4, v[0:1]
	v_mov_b32_e32 v2, 0
	v_lshlrev_b64 v[0:1], 4, v[1:2]
	s_delay_alu instid0(VALU_DEP_1) | instskip(NEXT) | instid1(VALU_DEP_2)
	v_add_co_u32 v2, vcc_lo, s0, v0
	v_add_co_ci_u32_e32 v3, vcc_lo, s1, v1, vcc_lo
	v_add_co_u32 v0, vcc_lo, s2, v0
	v_add_co_ci_u32_e32 v1, vcc_lo, s3, v1, vcc_lo
	global_load_b32 v4, v[2:3], off
	s_waitcnt vmcnt(0)
	global_store_b32 v[0:1], v4, off
	global_load_b32 v4, v[2:3], off offset:4
	s_waitcnt vmcnt(0)
	global_store_b32 v[0:1], v4, off offset:4
	global_load_b32 v4, v[2:3], off offset:8
	s_waitcnt vmcnt(0)
	global_store_b32 v[0:1], v4, off offset:8
	;; [unrolled: 3-line block ×3, first 2 shown]
	s_nop 0
	s_sendmsg sendmsg(MSG_DEALLOC_VGPRS)
	s_endpgm
	.section	.rodata,"a",@progbits
	.p2align	6, 0x0
	.amdhsa_kernel _Z25thread_copy_unroll_kernelILj4EfEvPT0_S1_
		.amdhsa_group_segment_fixed_size 0
		.amdhsa_private_segment_fixed_size 0
		.amdhsa_kernarg_size 272
		.amdhsa_user_sgpr_count 15
		.amdhsa_user_sgpr_dispatch_ptr 0
		.amdhsa_user_sgpr_queue_ptr 0
		.amdhsa_user_sgpr_kernarg_segment_ptr 1
		.amdhsa_user_sgpr_dispatch_id 0
		.amdhsa_user_sgpr_private_segment_size 0
		.amdhsa_wavefront_size32 1
		.amdhsa_uses_dynamic_stack 0
		.amdhsa_enable_private_segment 0
		.amdhsa_system_sgpr_workgroup_id_x 1
		.amdhsa_system_sgpr_workgroup_id_y 0
		.amdhsa_system_sgpr_workgroup_id_z 0
		.amdhsa_system_sgpr_workgroup_info 0
		.amdhsa_system_vgpr_workitem_id 0
		.amdhsa_next_free_vgpr 5
		.amdhsa_next_free_sgpr 16
		.amdhsa_reserve_vcc 1
		.amdhsa_float_round_mode_32 0
		.amdhsa_float_round_mode_16_64 0
		.amdhsa_float_denorm_mode_32 3
		.amdhsa_float_denorm_mode_16_64 3
		.amdhsa_dx10_clamp 1
		.amdhsa_ieee_mode 1
		.amdhsa_fp16_overflow 0
		.amdhsa_workgroup_processor_mode 1
		.amdhsa_memory_ordered 1
		.amdhsa_forward_progress 0
		.amdhsa_shared_vgpr_count 0
		.amdhsa_exception_fp_ieee_invalid_op 0
		.amdhsa_exception_fp_denorm_src 0
		.amdhsa_exception_fp_ieee_div_zero 0
		.amdhsa_exception_fp_ieee_overflow 0
		.amdhsa_exception_fp_ieee_underflow 0
		.amdhsa_exception_fp_ieee_inexact 0
		.amdhsa_exception_int_div_zero 0
	.end_amdhsa_kernel
	.section	.text._Z25thread_copy_unroll_kernelILj4EfEvPT0_S1_,"axG",@progbits,_Z25thread_copy_unroll_kernelILj4EfEvPT0_S1_,comdat
.Lfunc_end16:
	.size	_Z25thread_copy_unroll_kernelILj4EfEvPT0_S1_, .Lfunc_end16-_Z25thread_copy_unroll_kernelILj4EfEvPT0_S1_
                                        ; -- End function
	.section	.AMDGPU.csdata,"",@progbits
; Kernel info:
; codeLenInByte = 176
; NumSgprs: 18
; NumVgprs: 5
; ScratchSize: 0
; MemoryBound: 0
; FloatMode: 240
; IeeeMode: 1
; LDSByteSize: 0 bytes/workgroup (compile time only)
; SGPRBlocks: 2
; VGPRBlocks: 0
; NumSGPRsForWavesPerEU: 18
; NumVGPRsForWavesPerEU: 5
; Occupancy: 16
; WaveLimiterHint : 0
; COMPUTE_PGM_RSRC2:SCRATCH_EN: 0
; COMPUTE_PGM_RSRC2:USER_SGPR: 15
; COMPUTE_PGM_RSRC2:TRAP_HANDLER: 0
; COMPUTE_PGM_RSRC2:TGID_X_EN: 1
; COMPUTE_PGM_RSRC2:TGID_Y_EN: 0
; COMPUTE_PGM_RSRC2:TGID_Z_EN: 0
; COMPUTE_PGM_RSRC2:TIDIG_COMP_CNT: 0
	.section	.text._Z25thread_copy_unroll_kernelILj4E12hip_bfloat16EvPT0_S2_,"axG",@progbits,_Z25thread_copy_unroll_kernelILj4E12hip_bfloat16EvPT0_S2_,comdat
	.protected	_Z25thread_copy_unroll_kernelILj4E12hip_bfloat16EvPT0_S2_ ; -- Begin function _Z25thread_copy_unroll_kernelILj4E12hip_bfloat16EvPT0_S2_
	.globl	_Z25thread_copy_unroll_kernelILj4E12hip_bfloat16EvPT0_S2_
	.p2align	8
	.type	_Z25thread_copy_unroll_kernelILj4E12hip_bfloat16EvPT0_S2_,@function
_Z25thread_copy_unroll_kernelILj4E12hip_bfloat16EvPT0_S2_: ; @_Z25thread_copy_unroll_kernelILj4E12hip_bfloat16EvPT0_S2_
; %bb.0:
	s_clause 0x1
	s_load_b32 s4, s[0:1], 0x1c
	s_load_b128 s[0:3], s[0:1], 0x0
	s_waitcnt lgkmcnt(0)
	s_and_b32 s4, s4, 0xffff
	s_delay_alu instid0(SALU_CYCLE_1) | instskip(NEXT) | instid1(VALU_DEP_1)
	v_mad_u64_u32 v[2:3], null, s15, s4, v[0:1]
	v_dual_mov_b32 v3, 0 :: v_dual_and_b32 v6, 1, v2
	s_delay_alu instid0(VALU_DEP_1) | instskip(NEXT) | instid1(VALU_DEP_1)
	v_lshlrev_b64 v[3:4], 3, v[2:3]
	v_add_co_u32 v0, vcc_lo, s0, v3
	s_delay_alu instid0(VALU_DEP_2)
	v_add_co_ci_u32_e32 v1, vcc_lo, s1, v4, vcc_lo
	v_add_co_u32 v2, vcc_lo, s2, v3
	v_add_co_ci_u32_e32 v3, vcc_lo, s3, v4, vcc_lo
	global_load_u16 v5, v[0:1], off
	s_mov_b32 s0, exec_lo
	s_waitcnt vmcnt(0)
	global_store_b16 v[2:3], v5, off
	v_cmpx_eq_u32_e32 1, v6
	s_xor_b32 s0, exec_lo, s0
	s_cbranch_execnz .LBB17_3
; %bb.1:
	s_and_not1_saveexec_b32 s0, s0
	s_cbranch_execnz .LBB17_4
.LBB17_2:
	s_nop 0
	s_sendmsg sendmsg(MSG_DEALLOC_VGPRS)
	s_endpgm
.LBB17_3:
	global_load_u16 v4, v[0:1], off offset:2
	s_waitcnt vmcnt(0)
	global_store_b16 v[2:3], v4, off offset:2
	global_load_u16 v4, v[0:1], off offset:4
	s_waitcnt vmcnt(0)
	global_store_b16 v[2:3], v4, off offset:4
	;; [unrolled: 3-line block ×3, first 2 shown]
                                        ; implicit-def: $vgpr0_vgpr1
                                        ; implicit-def: $vgpr2_vgpr3
	s_and_not1_saveexec_b32 s0, s0
	s_cbranch_execz .LBB17_2
.LBB17_4:
	global_load_u16 v4, v[0:1], off offset:2
	s_waitcnt vmcnt(0)
	global_store_b16 v[2:3], v4, off offset:2
	global_load_u16 v4, v[0:1], off offset:4
	s_waitcnt vmcnt(0)
	global_store_b16 v[2:3], v4, off offset:4
	;; [unrolled: 3-line block ×3, first 2 shown]
	s_nop 0
	s_sendmsg sendmsg(MSG_DEALLOC_VGPRS)
	s_endpgm
	.section	.rodata,"a",@progbits
	.p2align	6, 0x0
	.amdhsa_kernel _Z25thread_copy_unroll_kernelILj4E12hip_bfloat16EvPT0_S2_
		.amdhsa_group_segment_fixed_size 0
		.amdhsa_private_segment_fixed_size 0
		.amdhsa_kernarg_size 272
		.amdhsa_user_sgpr_count 15
		.amdhsa_user_sgpr_dispatch_ptr 0
		.amdhsa_user_sgpr_queue_ptr 0
		.amdhsa_user_sgpr_kernarg_segment_ptr 1
		.amdhsa_user_sgpr_dispatch_id 0
		.amdhsa_user_sgpr_private_segment_size 0
		.amdhsa_wavefront_size32 1
		.amdhsa_uses_dynamic_stack 0
		.amdhsa_enable_private_segment 0
		.amdhsa_system_sgpr_workgroup_id_x 1
		.amdhsa_system_sgpr_workgroup_id_y 0
		.amdhsa_system_sgpr_workgroup_id_z 0
		.amdhsa_system_sgpr_workgroup_info 0
		.amdhsa_system_vgpr_workitem_id 0
		.amdhsa_next_free_vgpr 7
		.amdhsa_next_free_sgpr 16
		.amdhsa_reserve_vcc 1
		.amdhsa_float_round_mode_32 0
		.amdhsa_float_round_mode_16_64 0
		.amdhsa_float_denorm_mode_32 3
		.amdhsa_float_denorm_mode_16_64 3
		.amdhsa_dx10_clamp 1
		.amdhsa_ieee_mode 1
		.amdhsa_fp16_overflow 0
		.amdhsa_workgroup_processor_mode 1
		.amdhsa_memory_ordered 1
		.amdhsa_forward_progress 0
		.amdhsa_shared_vgpr_count 0
		.amdhsa_exception_fp_ieee_invalid_op 0
		.amdhsa_exception_fp_denorm_src 0
		.amdhsa_exception_fp_ieee_div_zero 0
		.amdhsa_exception_fp_ieee_overflow 0
		.amdhsa_exception_fp_ieee_underflow 0
		.amdhsa_exception_fp_ieee_inexact 0
		.amdhsa_exception_int_div_zero 0
	.end_amdhsa_kernel
	.section	.text._Z25thread_copy_unroll_kernelILj4E12hip_bfloat16EvPT0_S2_,"axG",@progbits,_Z25thread_copy_unroll_kernelILj4E12hip_bfloat16EvPT0_S2_,comdat
.Lfunc_end17:
	.size	_Z25thread_copy_unroll_kernelILj4E12hip_bfloat16EvPT0_S2_, .Lfunc_end17-_Z25thread_copy_unroll_kernelILj4E12hip_bfloat16EvPT0_S2_
                                        ; -- End function
	.section	.AMDGPU.csdata,"",@progbits
; Kernel info:
; codeLenInByte = 288
; NumSgprs: 18
; NumVgprs: 7
; ScratchSize: 0
; MemoryBound: 0
; FloatMode: 240
; IeeeMode: 1
; LDSByteSize: 0 bytes/workgroup (compile time only)
; SGPRBlocks: 2
; VGPRBlocks: 0
; NumSGPRsForWavesPerEU: 18
; NumVGPRsForWavesPerEU: 7
; Occupancy: 16
; WaveLimiterHint : 0
; COMPUTE_PGM_RSRC2:SCRATCH_EN: 0
; COMPUTE_PGM_RSRC2:USER_SGPR: 15
; COMPUTE_PGM_RSRC2:TRAP_HANDLER: 0
; COMPUTE_PGM_RSRC2:TGID_X_EN: 1
; COMPUTE_PGM_RSRC2:TGID_Y_EN: 0
; COMPUTE_PGM_RSRC2:TGID_Z_EN: 0
; COMPUTE_PGM_RSRC2:TIDIG_COMP_CNT: 0
	.section	.text._Z25thread_copy_unroll_kernelILj4E6__halfEvPT0_S2_,"axG",@progbits,_Z25thread_copy_unroll_kernelILj4E6__halfEvPT0_S2_,comdat
	.protected	_Z25thread_copy_unroll_kernelILj4E6__halfEvPT0_S2_ ; -- Begin function _Z25thread_copy_unroll_kernelILj4E6__halfEvPT0_S2_
	.globl	_Z25thread_copy_unroll_kernelILj4E6__halfEvPT0_S2_
	.p2align	8
	.type	_Z25thread_copy_unroll_kernelILj4E6__halfEvPT0_S2_,@function
_Z25thread_copy_unroll_kernelILj4E6__halfEvPT0_S2_: ; @_Z25thread_copy_unroll_kernelILj4E6__halfEvPT0_S2_
; %bb.0:
	s_clause 0x1
	s_load_b32 s4, s[0:1], 0x1c
	s_load_b128 s[0:3], s[0:1], 0x0
	s_waitcnt lgkmcnt(0)
	s_and_b32 s4, s4, 0xffff
	s_delay_alu instid0(SALU_CYCLE_1) | instskip(NEXT) | instid1(VALU_DEP_1)
	v_mad_u64_u32 v[2:3], null, s15, s4, v[0:1]
	v_dual_mov_b32 v3, 0 :: v_dual_and_b32 v6, 1, v2
	s_delay_alu instid0(VALU_DEP_1) | instskip(NEXT) | instid1(VALU_DEP_1)
	v_lshlrev_b64 v[3:4], 3, v[2:3]
	v_add_co_u32 v0, vcc_lo, s0, v3
	s_delay_alu instid0(VALU_DEP_2)
	v_add_co_ci_u32_e32 v1, vcc_lo, s1, v4, vcc_lo
	v_add_co_u32 v2, vcc_lo, s2, v3
	v_add_co_ci_u32_e32 v3, vcc_lo, s3, v4, vcc_lo
	global_load_u16 v5, v[0:1], off
	s_mov_b32 s0, exec_lo
	s_waitcnt vmcnt(0)
	global_store_b16 v[2:3], v5, off
	v_cmpx_eq_u32_e32 1, v6
	s_xor_b32 s0, exec_lo, s0
	s_cbranch_execnz .LBB18_3
; %bb.1:
	s_and_not1_saveexec_b32 s0, s0
	s_cbranch_execnz .LBB18_4
.LBB18_2:
	s_nop 0
	s_sendmsg sendmsg(MSG_DEALLOC_VGPRS)
	s_endpgm
.LBB18_3:
	global_load_u16 v4, v[0:1], off offset:2
	s_waitcnt vmcnt(0)
	global_store_b16 v[2:3], v4, off offset:2
	global_load_u16 v4, v[0:1], off offset:4
	s_waitcnt vmcnt(0)
	global_store_b16 v[2:3], v4, off offset:4
	;; [unrolled: 3-line block ×3, first 2 shown]
                                        ; implicit-def: $vgpr0_vgpr1
                                        ; implicit-def: $vgpr2_vgpr3
	s_and_not1_saveexec_b32 s0, s0
	s_cbranch_execz .LBB18_2
.LBB18_4:
	global_load_u16 v4, v[0:1], off offset:2
	s_waitcnt vmcnt(0)
	global_store_b16 v[2:3], v4, off offset:2
	global_load_u16 v4, v[0:1], off offset:4
	s_waitcnt vmcnt(0)
	global_store_b16 v[2:3], v4, off offset:4
	;; [unrolled: 3-line block ×3, first 2 shown]
	s_nop 0
	s_sendmsg sendmsg(MSG_DEALLOC_VGPRS)
	s_endpgm
	.section	.rodata,"a",@progbits
	.p2align	6, 0x0
	.amdhsa_kernel _Z25thread_copy_unroll_kernelILj4E6__halfEvPT0_S2_
		.amdhsa_group_segment_fixed_size 0
		.amdhsa_private_segment_fixed_size 0
		.amdhsa_kernarg_size 272
		.amdhsa_user_sgpr_count 15
		.amdhsa_user_sgpr_dispatch_ptr 0
		.amdhsa_user_sgpr_queue_ptr 0
		.amdhsa_user_sgpr_kernarg_segment_ptr 1
		.amdhsa_user_sgpr_dispatch_id 0
		.amdhsa_user_sgpr_private_segment_size 0
		.amdhsa_wavefront_size32 1
		.amdhsa_uses_dynamic_stack 0
		.amdhsa_enable_private_segment 0
		.amdhsa_system_sgpr_workgroup_id_x 1
		.amdhsa_system_sgpr_workgroup_id_y 0
		.amdhsa_system_sgpr_workgroup_id_z 0
		.amdhsa_system_sgpr_workgroup_info 0
		.amdhsa_system_vgpr_workitem_id 0
		.amdhsa_next_free_vgpr 7
		.amdhsa_next_free_sgpr 16
		.amdhsa_reserve_vcc 1
		.amdhsa_float_round_mode_32 0
		.amdhsa_float_round_mode_16_64 0
		.amdhsa_float_denorm_mode_32 3
		.amdhsa_float_denorm_mode_16_64 3
		.amdhsa_dx10_clamp 1
		.amdhsa_ieee_mode 1
		.amdhsa_fp16_overflow 0
		.amdhsa_workgroup_processor_mode 1
		.amdhsa_memory_ordered 1
		.amdhsa_forward_progress 0
		.amdhsa_shared_vgpr_count 0
		.amdhsa_exception_fp_ieee_invalid_op 0
		.amdhsa_exception_fp_denorm_src 0
		.amdhsa_exception_fp_ieee_div_zero 0
		.amdhsa_exception_fp_ieee_overflow 0
		.amdhsa_exception_fp_ieee_underflow 0
		.amdhsa_exception_fp_ieee_inexact 0
		.amdhsa_exception_int_div_zero 0
	.end_amdhsa_kernel
	.section	.text._Z25thread_copy_unroll_kernelILj4E6__halfEvPT0_S2_,"axG",@progbits,_Z25thread_copy_unroll_kernelILj4E6__halfEvPT0_S2_,comdat
.Lfunc_end18:
	.size	_Z25thread_copy_unroll_kernelILj4E6__halfEvPT0_S2_, .Lfunc_end18-_Z25thread_copy_unroll_kernelILj4E6__halfEvPT0_S2_
                                        ; -- End function
	.section	.AMDGPU.csdata,"",@progbits
; Kernel info:
; codeLenInByte = 288
; NumSgprs: 18
; NumVgprs: 7
; ScratchSize: 0
; MemoryBound: 0
; FloatMode: 240
; IeeeMode: 1
; LDSByteSize: 0 bytes/workgroup (compile time only)
; SGPRBlocks: 2
; VGPRBlocks: 0
; NumSGPRsForWavesPerEU: 18
; NumVGPRsForWavesPerEU: 7
; Occupancy: 16
; WaveLimiterHint : 0
; COMPUTE_PGM_RSRC2:SCRATCH_EN: 0
; COMPUTE_PGM_RSRC2:USER_SGPR: 15
; COMPUTE_PGM_RSRC2:TRAP_HANDLER: 0
; COMPUTE_PGM_RSRC2:TGID_X_EN: 1
; COMPUTE_PGM_RSRC2:TGID_Y_EN: 0
; COMPUTE_PGM_RSRC2:TGID_Z_EN: 0
; COMPUTE_PGM_RSRC2:TIDIG_COMP_CNT: 0
	.section	.text._Z25thread_copy_unroll_kernelILj4EiEvPT0_S1_,"axG",@progbits,_Z25thread_copy_unroll_kernelILj4EiEvPT0_S1_,comdat
	.protected	_Z25thread_copy_unroll_kernelILj4EiEvPT0_S1_ ; -- Begin function _Z25thread_copy_unroll_kernelILj4EiEvPT0_S1_
	.globl	_Z25thread_copy_unroll_kernelILj4EiEvPT0_S1_
	.p2align	8
	.type	_Z25thread_copy_unroll_kernelILj4EiEvPT0_S1_,@function
_Z25thread_copy_unroll_kernelILj4EiEvPT0_S1_: ; @_Z25thread_copy_unroll_kernelILj4EiEvPT0_S1_
; %bb.0:
	s_clause 0x1
	s_load_b32 s4, s[0:1], 0x1c
	s_load_b128 s[0:3], s[0:1], 0x0
	s_waitcnt lgkmcnt(0)
	s_and_b32 s4, s4, 0xffff
	s_delay_alu instid0(SALU_CYCLE_1) | instskip(SKIP_1) | instid1(VALU_DEP_1)
	v_mad_u64_u32 v[1:2], null, s15, s4, v[0:1]
	v_mov_b32_e32 v2, 0
	v_lshlrev_b64 v[0:1], 4, v[1:2]
	s_delay_alu instid0(VALU_DEP_1) | instskip(NEXT) | instid1(VALU_DEP_2)
	v_add_co_u32 v2, vcc_lo, s0, v0
	v_add_co_ci_u32_e32 v3, vcc_lo, s1, v1, vcc_lo
	v_add_co_u32 v0, vcc_lo, s2, v0
	v_add_co_ci_u32_e32 v1, vcc_lo, s3, v1, vcc_lo
	global_load_b32 v4, v[2:3], off
	s_waitcnt vmcnt(0)
	global_store_b32 v[0:1], v4, off
	global_load_b32 v4, v[2:3], off offset:4
	s_waitcnt vmcnt(0)
	global_store_b32 v[0:1], v4, off offset:4
	global_load_b32 v4, v[2:3], off offset:8
	s_waitcnt vmcnt(0)
	global_store_b32 v[0:1], v4, off offset:8
	;; [unrolled: 3-line block ×3, first 2 shown]
	s_nop 0
	s_sendmsg sendmsg(MSG_DEALLOC_VGPRS)
	s_endpgm
	.section	.rodata,"a",@progbits
	.p2align	6, 0x0
	.amdhsa_kernel _Z25thread_copy_unroll_kernelILj4EiEvPT0_S1_
		.amdhsa_group_segment_fixed_size 0
		.amdhsa_private_segment_fixed_size 0
		.amdhsa_kernarg_size 272
		.amdhsa_user_sgpr_count 15
		.amdhsa_user_sgpr_dispatch_ptr 0
		.amdhsa_user_sgpr_queue_ptr 0
		.amdhsa_user_sgpr_kernarg_segment_ptr 1
		.amdhsa_user_sgpr_dispatch_id 0
		.amdhsa_user_sgpr_private_segment_size 0
		.amdhsa_wavefront_size32 1
		.amdhsa_uses_dynamic_stack 0
		.amdhsa_enable_private_segment 0
		.amdhsa_system_sgpr_workgroup_id_x 1
		.amdhsa_system_sgpr_workgroup_id_y 0
		.amdhsa_system_sgpr_workgroup_id_z 0
		.amdhsa_system_sgpr_workgroup_info 0
		.amdhsa_system_vgpr_workitem_id 0
		.amdhsa_next_free_vgpr 5
		.amdhsa_next_free_sgpr 16
		.amdhsa_reserve_vcc 1
		.amdhsa_float_round_mode_32 0
		.amdhsa_float_round_mode_16_64 0
		.amdhsa_float_denorm_mode_32 3
		.amdhsa_float_denorm_mode_16_64 3
		.amdhsa_dx10_clamp 1
		.amdhsa_ieee_mode 1
		.amdhsa_fp16_overflow 0
		.amdhsa_workgroup_processor_mode 1
		.amdhsa_memory_ordered 1
		.amdhsa_forward_progress 0
		.amdhsa_shared_vgpr_count 0
		.amdhsa_exception_fp_ieee_invalid_op 0
		.amdhsa_exception_fp_denorm_src 0
		.amdhsa_exception_fp_ieee_div_zero 0
		.amdhsa_exception_fp_ieee_overflow 0
		.amdhsa_exception_fp_ieee_underflow 0
		.amdhsa_exception_fp_ieee_inexact 0
		.amdhsa_exception_int_div_zero 0
	.end_amdhsa_kernel
	.section	.text._Z25thread_copy_unroll_kernelILj4EiEvPT0_S1_,"axG",@progbits,_Z25thread_copy_unroll_kernelILj4EiEvPT0_S1_,comdat
.Lfunc_end19:
	.size	_Z25thread_copy_unroll_kernelILj4EiEvPT0_S1_, .Lfunc_end19-_Z25thread_copy_unroll_kernelILj4EiEvPT0_S1_
                                        ; -- End function
	.section	.AMDGPU.csdata,"",@progbits
; Kernel info:
; codeLenInByte = 176
; NumSgprs: 18
; NumVgprs: 5
; ScratchSize: 0
; MemoryBound: 0
; FloatMode: 240
; IeeeMode: 1
; LDSByteSize: 0 bytes/workgroup (compile time only)
; SGPRBlocks: 2
; VGPRBlocks: 0
; NumSGPRsForWavesPerEU: 18
; NumVGPRsForWavesPerEU: 5
; Occupancy: 16
; WaveLimiterHint : 0
; COMPUTE_PGM_RSRC2:SCRATCH_EN: 0
; COMPUTE_PGM_RSRC2:USER_SGPR: 15
; COMPUTE_PGM_RSRC2:TRAP_HANDLER: 0
; COMPUTE_PGM_RSRC2:TGID_X_EN: 1
; COMPUTE_PGM_RSRC2:TGID_Y_EN: 0
; COMPUTE_PGM_RSRC2:TGID_Z_EN: 0
; COMPUTE_PGM_RSRC2:TIDIG_COMP_CNT: 0
	.section	.text._Z25thread_copy_unroll_kernelILj4EmEvPT0_S1_,"axG",@progbits,_Z25thread_copy_unroll_kernelILj4EmEvPT0_S1_,comdat
	.protected	_Z25thread_copy_unroll_kernelILj4EmEvPT0_S1_ ; -- Begin function _Z25thread_copy_unroll_kernelILj4EmEvPT0_S1_
	.globl	_Z25thread_copy_unroll_kernelILj4EmEvPT0_S1_
	.p2align	8
	.type	_Z25thread_copy_unroll_kernelILj4EmEvPT0_S1_,@function
_Z25thread_copy_unroll_kernelILj4EmEvPT0_S1_: ; @_Z25thread_copy_unroll_kernelILj4EmEvPT0_S1_
; %bb.0:
	s_clause 0x1
	s_load_b32 s4, s[0:1], 0x1c
	s_load_b128 s[0:3], s[0:1], 0x0
	s_waitcnt lgkmcnt(0)
	s_and_b32 s4, s4, 0xffff
	s_delay_alu instid0(SALU_CYCLE_1) | instskip(SKIP_1) | instid1(VALU_DEP_1)
	v_mad_u64_u32 v[1:2], null, s15, s4, v[0:1]
	v_mov_b32_e32 v2, 0
	v_lshlrev_b64 v[0:1], 5, v[1:2]
	s_delay_alu instid0(VALU_DEP_1) | instskip(NEXT) | instid1(VALU_DEP_2)
	v_add_co_u32 v2, vcc_lo, s0, v0
	v_add_co_ci_u32_e32 v3, vcc_lo, s1, v1, vcc_lo
	v_add_co_u32 v0, vcc_lo, s2, v0
	v_add_co_ci_u32_e32 v1, vcc_lo, s3, v1, vcc_lo
	global_load_b64 v[4:5], v[2:3], off
	s_waitcnt vmcnt(0)
	global_store_b64 v[0:1], v[4:5], off
	global_load_b64 v[4:5], v[2:3], off offset:8
	s_waitcnt vmcnt(0)
	global_store_b64 v[0:1], v[4:5], off offset:8
	global_load_b64 v[4:5], v[2:3], off offset:16
	s_waitcnt vmcnt(0)
	global_store_b64 v[0:1], v[4:5], off offset:16
	;; [unrolled: 3-line block ×3, first 2 shown]
	s_nop 0
	s_sendmsg sendmsg(MSG_DEALLOC_VGPRS)
	s_endpgm
	.section	.rodata,"a",@progbits
	.p2align	6, 0x0
	.amdhsa_kernel _Z25thread_copy_unroll_kernelILj4EmEvPT0_S1_
		.amdhsa_group_segment_fixed_size 0
		.amdhsa_private_segment_fixed_size 0
		.amdhsa_kernarg_size 272
		.amdhsa_user_sgpr_count 15
		.amdhsa_user_sgpr_dispatch_ptr 0
		.amdhsa_user_sgpr_queue_ptr 0
		.amdhsa_user_sgpr_kernarg_segment_ptr 1
		.amdhsa_user_sgpr_dispatch_id 0
		.amdhsa_user_sgpr_private_segment_size 0
		.amdhsa_wavefront_size32 1
		.amdhsa_uses_dynamic_stack 0
		.amdhsa_enable_private_segment 0
		.amdhsa_system_sgpr_workgroup_id_x 1
		.amdhsa_system_sgpr_workgroup_id_y 0
		.amdhsa_system_sgpr_workgroup_id_z 0
		.amdhsa_system_sgpr_workgroup_info 0
		.amdhsa_system_vgpr_workitem_id 0
		.amdhsa_next_free_vgpr 6
		.amdhsa_next_free_sgpr 16
		.amdhsa_reserve_vcc 1
		.amdhsa_float_round_mode_32 0
		.amdhsa_float_round_mode_16_64 0
		.amdhsa_float_denorm_mode_32 3
		.amdhsa_float_denorm_mode_16_64 3
		.amdhsa_dx10_clamp 1
		.amdhsa_ieee_mode 1
		.amdhsa_fp16_overflow 0
		.amdhsa_workgroup_processor_mode 1
		.amdhsa_memory_ordered 1
		.amdhsa_forward_progress 0
		.amdhsa_shared_vgpr_count 0
		.amdhsa_exception_fp_ieee_invalid_op 0
		.amdhsa_exception_fp_denorm_src 0
		.amdhsa_exception_fp_ieee_div_zero 0
		.amdhsa_exception_fp_ieee_overflow 0
		.amdhsa_exception_fp_ieee_underflow 0
		.amdhsa_exception_fp_ieee_inexact 0
		.amdhsa_exception_int_div_zero 0
	.end_amdhsa_kernel
	.section	.text._Z25thread_copy_unroll_kernelILj4EmEvPT0_S1_,"axG",@progbits,_Z25thread_copy_unroll_kernelILj4EmEvPT0_S1_,comdat
.Lfunc_end20:
	.size	_Z25thread_copy_unroll_kernelILj4EmEvPT0_S1_, .Lfunc_end20-_Z25thread_copy_unroll_kernelILj4EmEvPT0_S1_
                                        ; -- End function
	.section	.AMDGPU.csdata,"",@progbits
; Kernel info:
; codeLenInByte = 176
; NumSgprs: 18
; NumVgprs: 6
; ScratchSize: 0
; MemoryBound: 1
; FloatMode: 240
; IeeeMode: 1
; LDSByteSize: 0 bytes/workgroup (compile time only)
; SGPRBlocks: 2
; VGPRBlocks: 0
; NumSGPRsForWavesPerEU: 18
; NumVGPRsForWavesPerEU: 6
; Occupancy: 16
; WaveLimiterHint : 1
; COMPUTE_PGM_RSRC2:SCRATCH_EN: 0
; COMPUTE_PGM_RSRC2:USER_SGPR: 15
; COMPUTE_PGM_RSRC2:TRAP_HANDLER: 0
; COMPUTE_PGM_RSRC2:TGID_X_EN: 1
; COMPUTE_PGM_RSRC2:TGID_Y_EN: 0
; COMPUTE_PGM_RSRC2:TGID_Z_EN: 0
; COMPUTE_PGM_RSRC2:TIDIG_COMP_CNT: 0
	.section	.text._Z25thread_copy_unroll_kernelILj4EjEvPT0_S1_,"axG",@progbits,_Z25thread_copy_unroll_kernelILj4EjEvPT0_S1_,comdat
	.protected	_Z25thread_copy_unroll_kernelILj4EjEvPT0_S1_ ; -- Begin function _Z25thread_copy_unroll_kernelILj4EjEvPT0_S1_
	.globl	_Z25thread_copy_unroll_kernelILj4EjEvPT0_S1_
	.p2align	8
	.type	_Z25thread_copy_unroll_kernelILj4EjEvPT0_S1_,@function
_Z25thread_copy_unroll_kernelILj4EjEvPT0_S1_: ; @_Z25thread_copy_unroll_kernelILj4EjEvPT0_S1_
; %bb.0:
	s_clause 0x1
	s_load_b32 s4, s[0:1], 0x1c
	s_load_b128 s[0:3], s[0:1], 0x0
	s_waitcnt lgkmcnt(0)
	s_and_b32 s4, s4, 0xffff
	s_delay_alu instid0(SALU_CYCLE_1) | instskip(SKIP_1) | instid1(VALU_DEP_1)
	v_mad_u64_u32 v[1:2], null, s15, s4, v[0:1]
	v_mov_b32_e32 v2, 0
	v_lshlrev_b64 v[0:1], 4, v[1:2]
	s_delay_alu instid0(VALU_DEP_1) | instskip(NEXT) | instid1(VALU_DEP_2)
	v_add_co_u32 v2, vcc_lo, s0, v0
	v_add_co_ci_u32_e32 v3, vcc_lo, s1, v1, vcc_lo
	v_add_co_u32 v0, vcc_lo, s2, v0
	v_add_co_ci_u32_e32 v1, vcc_lo, s3, v1, vcc_lo
	global_load_b32 v4, v[2:3], off
	s_waitcnt vmcnt(0)
	global_store_b32 v[0:1], v4, off
	global_load_b32 v4, v[2:3], off offset:4
	s_waitcnt vmcnt(0)
	global_store_b32 v[0:1], v4, off offset:4
	global_load_b32 v4, v[2:3], off offset:8
	s_waitcnt vmcnt(0)
	global_store_b32 v[0:1], v4, off offset:8
	;; [unrolled: 3-line block ×3, first 2 shown]
	s_nop 0
	s_sendmsg sendmsg(MSG_DEALLOC_VGPRS)
	s_endpgm
	.section	.rodata,"a",@progbits
	.p2align	6, 0x0
	.amdhsa_kernel _Z25thread_copy_unroll_kernelILj4EjEvPT0_S1_
		.amdhsa_group_segment_fixed_size 0
		.amdhsa_private_segment_fixed_size 0
		.amdhsa_kernarg_size 272
		.amdhsa_user_sgpr_count 15
		.amdhsa_user_sgpr_dispatch_ptr 0
		.amdhsa_user_sgpr_queue_ptr 0
		.amdhsa_user_sgpr_kernarg_segment_ptr 1
		.amdhsa_user_sgpr_dispatch_id 0
		.amdhsa_user_sgpr_private_segment_size 0
		.amdhsa_wavefront_size32 1
		.amdhsa_uses_dynamic_stack 0
		.amdhsa_enable_private_segment 0
		.amdhsa_system_sgpr_workgroup_id_x 1
		.amdhsa_system_sgpr_workgroup_id_y 0
		.amdhsa_system_sgpr_workgroup_id_z 0
		.amdhsa_system_sgpr_workgroup_info 0
		.amdhsa_system_vgpr_workitem_id 0
		.amdhsa_next_free_vgpr 5
		.amdhsa_next_free_sgpr 16
		.amdhsa_reserve_vcc 1
		.amdhsa_float_round_mode_32 0
		.amdhsa_float_round_mode_16_64 0
		.amdhsa_float_denorm_mode_32 3
		.amdhsa_float_denorm_mode_16_64 3
		.amdhsa_dx10_clamp 1
		.amdhsa_ieee_mode 1
		.amdhsa_fp16_overflow 0
		.amdhsa_workgroup_processor_mode 1
		.amdhsa_memory_ordered 1
		.amdhsa_forward_progress 0
		.amdhsa_shared_vgpr_count 0
		.amdhsa_exception_fp_ieee_invalid_op 0
		.amdhsa_exception_fp_denorm_src 0
		.amdhsa_exception_fp_ieee_div_zero 0
		.amdhsa_exception_fp_ieee_overflow 0
		.amdhsa_exception_fp_ieee_underflow 0
		.amdhsa_exception_fp_ieee_inexact 0
		.amdhsa_exception_int_div_zero 0
	.end_amdhsa_kernel
	.section	.text._Z25thread_copy_unroll_kernelILj4EjEvPT0_S1_,"axG",@progbits,_Z25thread_copy_unroll_kernelILj4EjEvPT0_S1_,comdat
.Lfunc_end21:
	.size	_Z25thread_copy_unroll_kernelILj4EjEvPT0_S1_, .Lfunc_end21-_Z25thread_copy_unroll_kernelILj4EjEvPT0_S1_
                                        ; -- End function
	.section	.AMDGPU.csdata,"",@progbits
; Kernel info:
; codeLenInByte = 176
; NumSgprs: 18
; NumVgprs: 5
; ScratchSize: 0
; MemoryBound: 0
; FloatMode: 240
; IeeeMode: 1
; LDSByteSize: 0 bytes/workgroup (compile time only)
; SGPRBlocks: 2
; VGPRBlocks: 0
; NumSGPRsForWavesPerEU: 18
; NumVGPRsForWavesPerEU: 5
; Occupancy: 16
; WaveLimiterHint : 0
; COMPUTE_PGM_RSRC2:SCRATCH_EN: 0
; COMPUTE_PGM_RSRC2:USER_SGPR: 15
; COMPUTE_PGM_RSRC2:TRAP_HANDLER: 0
; COMPUTE_PGM_RSRC2:TGID_X_EN: 1
; COMPUTE_PGM_RSRC2:TGID_Y_EN: 0
; COMPUTE_PGM_RSRC2:TGID_Z_EN: 0
; COMPUTE_PGM_RSRC2:TIDIG_COMP_CNT: 0
	.section	.text._Z25thread_copy_unroll_kernelILj4EtEvPT0_S1_,"axG",@progbits,_Z25thread_copy_unroll_kernelILj4EtEvPT0_S1_,comdat
	.protected	_Z25thread_copy_unroll_kernelILj4EtEvPT0_S1_ ; -- Begin function _Z25thread_copy_unroll_kernelILj4EtEvPT0_S1_
	.globl	_Z25thread_copy_unroll_kernelILj4EtEvPT0_S1_
	.p2align	8
	.type	_Z25thread_copy_unroll_kernelILj4EtEvPT0_S1_,@function
_Z25thread_copy_unroll_kernelILj4EtEvPT0_S1_: ; @_Z25thread_copy_unroll_kernelILj4EtEvPT0_S1_
; %bb.0:
	s_clause 0x1
	s_load_b32 s4, s[0:1], 0x1c
	s_load_b128 s[0:3], s[0:1], 0x0
	s_waitcnt lgkmcnt(0)
	s_and_b32 s4, s4, 0xffff
	s_delay_alu instid0(SALU_CYCLE_1) | instskip(SKIP_1) | instid1(VALU_DEP_1)
	v_mad_u64_u32 v[1:2], null, s15, s4, v[0:1]
	v_mov_b32_e32 v2, 0
	v_lshlrev_b64 v[0:1], 3, v[1:2]
	s_delay_alu instid0(VALU_DEP_1) | instskip(NEXT) | instid1(VALU_DEP_2)
	v_add_co_u32 v2, vcc_lo, s0, v0
	v_add_co_ci_u32_e32 v3, vcc_lo, s1, v1, vcc_lo
	v_add_co_u32 v0, vcc_lo, s2, v0
	v_add_co_ci_u32_e32 v1, vcc_lo, s3, v1, vcc_lo
	global_load_u16 v4, v[2:3], off
	s_waitcnt vmcnt(0)
	global_store_b16 v[0:1], v4, off
	global_load_u16 v4, v[2:3], off offset:2
	s_waitcnt vmcnt(0)
	global_store_b16 v[0:1], v4, off offset:2
	global_load_u16 v4, v[2:3], off offset:4
	s_waitcnt vmcnt(0)
	global_store_b16 v[0:1], v4, off offset:4
	;; [unrolled: 3-line block ×3, first 2 shown]
	s_nop 0
	s_sendmsg sendmsg(MSG_DEALLOC_VGPRS)
	s_endpgm
	.section	.rodata,"a",@progbits
	.p2align	6, 0x0
	.amdhsa_kernel _Z25thread_copy_unroll_kernelILj4EtEvPT0_S1_
		.amdhsa_group_segment_fixed_size 0
		.amdhsa_private_segment_fixed_size 0
		.amdhsa_kernarg_size 272
		.amdhsa_user_sgpr_count 15
		.amdhsa_user_sgpr_dispatch_ptr 0
		.amdhsa_user_sgpr_queue_ptr 0
		.amdhsa_user_sgpr_kernarg_segment_ptr 1
		.amdhsa_user_sgpr_dispatch_id 0
		.amdhsa_user_sgpr_private_segment_size 0
		.amdhsa_wavefront_size32 1
		.amdhsa_uses_dynamic_stack 0
		.amdhsa_enable_private_segment 0
		.amdhsa_system_sgpr_workgroup_id_x 1
		.amdhsa_system_sgpr_workgroup_id_y 0
		.amdhsa_system_sgpr_workgroup_id_z 0
		.amdhsa_system_sgpr_workgroup_info 0
		.amdhsa_system_vgpr_workitem_id 0
		.amdhsa_next_free_vgpr 5
		.amdhsa_next_free_sgpr 16
		.amdhsa_reserve_vcc 1
		.amdhsa_float_round_mode_32 0
		.amdhsa_float_round_mode_16_64 0
		.amdhsa_float_denorm_mode_32 3
		.amdhsa_float_denorm_mode_16_64 3
		.amdhsa_dx10_clamp 1
		.amdhsa_ieee_mode 1
		.amdhsa_fp16_overflow 0
		.amdhsa_workgroup_processor_mode 1
		.amdhsa_memory_ordered 1
		.amdhsa_forward_progress 0
		.amdhsa_shared_vgpr_count 0
		.amdhsa_exception_fp_ieee_invalid_op 0
		.amdhsa_exception_fp_denorm_src 0
		.amdhsa_exception_fp_ieee_div_zero 0
		.amdhsa_exception_fp_ieee_overflow 0
		.amdhsa_exception_fp_ieee_underflow 0
		.amdhsa_exception_fp_ieee_inexact 0
		.amdhsa_exception_int_div_zero 0
	.end_amdhsa_kernel
	.section	.text._Z25thread_copy_unroll_kernelILj4EtEvPT0_S1_,"axG",@progbits,_Z25thread_copy_unroll_kernelILj4EtEvPT0_S1_,comdat
.Lfunc_end22:
	.size	_Z25thread_copy_unroll_kernelILj4EtEvPT0_S1_, .Lfunc_end22-_Z25thread_copy_unroll_kernelILj4EtEvPT0_S1_
                                        ; -- End function
	.section	.AMDGPU.csdata,"",@progbits
; Kernel info:
; codeLenInByte = 176
; NumSgprs: 18
; NumVgprs: 5
; ScratchSize: 0
; MemoryBound: 0
; FloatMode: 240
; IeeeMode: 1
; LDSByteSize: 0 bytes/workgroup (compile time only)
; SGPRBlocks: 2
; VGPRBlocks: 0
; NumSGPRsForWavesPerEU: 18
; NumVGPRsForWavesPerEU: 5
; Occupancy: 16
; WaveLimiterHint : 0
; COMPUTE_PGM_RSRC2:SCRATCH_EN: 0
; COMPUTE_PGM_RSRC2:USER_SGPR: 15
; COMPUTE_PGM_RSRC2:TRAP_HANDLER: 0
; COMPUTE_PGM_RSRC2:TGID_X_EN: 1
; COMPUTE_PGM_RSRC2:TGID_Y_EN: 0
; COMPUTE_PGM_RSRC2:TGID_Z_EN: 0
; COMPUTE_PGM_RSRC2:TIDIG_COMP_CNT: 0
	.section	.text._Z25thread_copy_unroll_kernelILj4EhEvPT0_S1_,"axG",@progbits,_Z25thread_copy_unroll_kernelILj4EhEvPT0_S1_,comdat
	.protected	_Z25thread_copy_unroll_kernelILj4EhEvPT0_S1_ ; -- Begin function _Z25thread_copy_unroll_kernelILj4EhEvPT0_S1_
	.globl	_Z25thread_copy_unroll_kernelILj4EhEvPT0_S1_
	.p2align	8
	.type	_Z25thread_copy_unroll_kernelILj4EhEvPT0_S1_,@function
_Z25thread_copy_unroll_kernelILj4EhEvPT0_S1_: ; @_Z25thread_copy_unroll_kernelILj4EhEvPT0_S1_
; %bb.0:
	s_clause 0x1
	s_load_b32 s4, s[0:1], 0x1c
	s_load_b128 s[0:3], s[0:1], 0x0
	s_waitcnt lgkmcnt(0)
	s_and_b32 s4, s4, 0xffff
	s_delay_alu instid0(SALU_CYCLE_1) | instskip(SKIP_1) | instid1(VALU_DEP_1)
	v_mad_u64_u32 v[1:2], null, s15, s4, v[0:1]
	v_mov_b32_e32 v2, 0
	v_lshlrev_b64 v[0:1], 2, v[1:2]
	s_delay_alu instid0(VALU_DEP_1) | instskip(NEXT) | instid1(VALU_DEP_2)
	v_add_co_u32 v2, vcc_lo, s0, v0
	v_add_co_ci_u32_e32 v3, vcc_lo, s1, v1, vcc_lo
	v_add_co_u32 v0, vcc_lo, s2, v0
	v_add_co_ci_u32_e32 v1, vcc_lo, s3, v1, vcc_lo
	global_load_u8 v4, v[2:3], off
	s_waitcnt vmcnt(0)
	global_store_b8 v[0:1], v4, off
	global_load_u8 v4, v[2:3], off offset:1
	s_waitcnt vmcnt(0)
	global_store_b8 v[0:1], v4, off offset:1
	global_load_u8 v4, v[2:3], off offset:2
	s_waitcnt vmcnt(0)
	global_store_b8 v[0:1], v4, off offset:2
	global_load_u8 v2, v[2:3], off offset:3
	s_waitcnt vmcnt(0)
	global_store_b8 v[0:1], v2, off offset:3
	s_nop 0
	s_sendmsg sendmsg(MSG_DEALLOC_VGPRS)
	s_endpgm
	.section	.rodata,"a",@progbits
	.p2align	6, 0x0
	.amdhsa_kernel _Z25thread_copy_unroll_kernelILj4EhEvPT0_S1_
		.amdhsa_group_segment_fixed_size 0
		.amdhsa_private_segment_fixed_size 0
		.amdhsa_kernarg_size 272
		.amdhsa_user_sgpr_count 15
		.amdhsa_user_sgpr_dispatch_ptr 0
		.amdhsa_user_sgpr_queue_ptr 0
		.amdhsa_user_sgpr_kernarg_segment_ptr 1
		.amdhsa_user_sgpr_dispatch_id 0
		.amdhsa_user_sgpr_private_segment_size 0
		.amdhsa_wavefront_size32 1
		.amdhsa_uses_dynamic_stack 0
		.amdhsa_enable_private_segment 0
		.amdhsa_system_sgpr_workgroup_id_x 1
		.amdhsa_system_sgpr_workgroup_id_y 0
		.amdhsa_system_sgpr_workgroup_id_z 0
		.amdhsa_system_sgpr_workgroup_info 0
		.amdhsa_system_vgpr_workitem_id 0
		.amdhsa_next_free_vgpr 5
		.amdhsa_next_free_sgpr 16
		.amdhsa_reserve_vcc 1
		.amdhsa_float_round_mode_32 0
		.amdhsa_float_round_mode_16_64 0
		.amdhsa_float_denorm_mode_32 3
		.amdhsa_float_denorm_mode_16_64 3
		.amdhsa_dx10_clamp 1
		.amdhsa_ieee_mode 1
		.amdhsa_fp16_overflow 0
		.amdhsa_workgroup_processor_mode 1
		.amdhsa_memory_ordered 1
		.amdhsa_forward_progress 0
		.amdhsa_shared_vgpr_count 0
		.amdhsa_exception_fp_ieee_invalid_op 0
		.amdhsa_exception_fp_denorm_src 0
		.amdhsa_exception_fp_ieee_div_zero 0
		.amdhsa_exception_fp_ieee_overflow 0
		.amdhsa_exception_fp_ieee_underflow 0
		.amdhsa_exception_fp_ieee_inexact 0
		.amdhsa_exception_int_div_zero 0
	.end_amdhsa_kernel
	.section	.text._Z25thread_copy_unroll_kernelILj4EhEvPT0_S1_,"axG",@progbits,_Z25thread_copy_unroll_kernelILj4EhEvPT0_S1_,comdat
.Lfunc_end23:
	.size	_Z25thread_copy_unroll_kernelILj4EhEvPT0_S1_, .Lfunc_end23-_Z25thread_copy_unroll_kernelILj4EhEvPT0_S1_
                                        ; -- End function
	.section	.AMDGPU.csdata,"",@progbits
; Kernel info:
; codeLenInByte = 176
; NumSgprs: 18
; NumVgprs: 5
; ScratchSize: 0
; MemoryBound: 0
; FloatMode: 240
; IeeeMode: 1
; LDSByteSize: 0 bytes/workgroup (compile time only)
; SGPRBlocks: 2
; VGPRBlocks: 0
; NumSGPRsForWavesPerEU: 18
; NumVGPRsForWavesPerEU: 5
; Occupancy: 16
; WaveLimiterHint : 0
; COMPUTE_PGM_RSRC2:SCRATCH_EN: 0
; COMPUTE_PGM_RSRC2:USER_SGPR: 15
; COMPUTE_PGM_RSRC2:TRAP_HANDLER: 0
; COMPUTE_PGM_RSRC2:TGID_X_EN: 1
; COMPUTE_PGM_RSRC2:TGID_Y_EN: 0
; COMPUTE_PGM_RSRC2:TGID_Z_EN: 0
; COMPUTE_PGM_RSRC2:TIDIG_COMP_CNT: 0
	.section	.text._Z19thread_store_kernelIoEvPT_S1_,"axG",@progbits,_Z19thread_store_kernelIoEvPT_S1_,comdat
	.protected	_Z19thread_store_kernelIoEvPT_S1_ ; -- Begin function _Z19thread_store_kernelIoEvPT_S1_
	.globl	_Z19thread_store_kernelIoEvPT_S1_
	.p2align	8
	.type	_Z19thread_store_kernelIoEvPT_S1_,@function
_Z19thread_store_kernelIoEvPT_S1_:      ; @_Z19thread_store_kernelIoEvPT_S1_
; %bb.0:
	s_load_b32 s2, s[0:1], 0x1c
	s_waitcnt lgkmcnt(0)
	s_and_b32 s2, s2, 0xffff
	s_delay_alu instid0(SALU_CYCLE_1) | instskip(SKIP_1) | instid1(VALU_DEP_1)
	v_mad_u64_u32 v[1:2], null, s15, s2, v[0:1]
	s_load_b128 s[0:3], s[0:1], 0x0
	v_mul_hi_u32 v0, 0x24924925, v1
	s_delay_alu instid0(VALU_DEP_1) | instskip(NEXT) | instid1(VALU_DEP_1)
	v_sub_nc_u32_e32 v2, v1, v0
	v_lshrrev_b32_e32 v2, 1, v2
	s_delay_alu instid0(VALU_DEP_1) | instskip(SKIP_1) | instid1(VALU_DEP_2)
	v_add_nc_u32_e32 v0, v2, v0
	v_mov_b32_e32 v2, 0
	v_lshrrev_b32_e32 v0, 2, v0
	s_delay_alu instid0(VALU_DEP_2) | instskip(NEXT) | instid1(VALU_DEP_2)
	v_lshlrev_b64 v[2:3], 4, v[1:2]
	v_mul_lo_u32 v0, v0, 7
	s_delay_alu instid0(VALU_DEP_1) | instskip(SKIP_1) | instid1(VALU_DEP_3)
	v_sub_nc_u32_e32 v4, v1, v0
	s_waitcnt lgkmcnt(0)
	v_add_co_u32 v0, vcc_lo, s2, v2
	s_delay_alu instid0(VALU_DEP_4)
	v_add_co_ci_u32_e32 v1, vcc_lo, s3, v3, vcc_lo
	s_mov_b32 s2, exec_lo
	v_cmpx_lt_i32_e32 1, v4
	s_xor_b32 s2, exec_lo, s2
	s_cbranch_execz .LBB24_14
; %bb.1:
	s_mov_b32 s3, exec_lo
	v_cmpx_lt_i32_e32 2, v4
	s_xor_b32 s3, exec_lo, s3
	s_cbranch_execz .LBB24_11
; %bb.2:
	s_mov_b32 s4, exec_lo
	v_cmpx_lt_i32_e32 3, v4
	s_xor_b32 s4, exec_lo, s4
	s_cbranch_execz .LBB24_8
; %bb.3:
	s_mov_b32 s5, exec_lo
	v_cmpx_ne_u32_e32 4, v4
	s_xor_b32 s5, exec_lo, s5
	s_cbranch_execz .LBB24_5
; %bb.4:
	v_add_co_u32 v2, vcc_lo, s0, v2
	v_add_co_ci_u32_e32 v3, vcc_lo, s1, v3, vcc_lo
	global_load_b128 v[2:5], v[2:3], off
	s_waitcnt vmcnt(0)
	flat_store_b64 v[0:1], v[2:3] dlc
	s_waitcnt_vscnt null, 0x0
	flat_store_b64 v[0:1], v[4:5] offset:8 dlc
	s_waitcnt_vscnt null, 0x0
                                        ; implicit-def: $vgpr2_vgpr3
                                        ; implicit-def: $vgpr0_vgpr1
.LBB24_5:
	s_and_not1_saveexec_b32 s5, s5
	s_cbranch_execz .LBB24_7
; %bb.6:
	v_add_co_u32 v2, vcc_lo, s0, v2
	v_add_co_ci_u32_e32 v3, vcc_lo, s1, v3, vcc_lo
	global_load_b128 v[2:5], v[2:3], off
	s_waitcnt vmcnt(0)
	flat_store_b64 v[0:1], v[2:3] dlc
	s_waitcnt_vscnt null, 0x0
	flat_store_b64 v[0:1], v[4:5] offset:8 dlc
	s_waitcnt_vscnt null, 0x0
.LBB24_7:
	s_or_b32 exec_lo, exec_lo, s5
                                        ; implicit-def: $vgpr2_vgpr3
                                        ; implicit-def: $vgpr0_vgpr1
.LBB24_8:
	s_and_not1_saveexec_b32 s4, s4
	s_cbranch_execz .LBB24_10
; %bb.9:
	v_add_co_u32 v2, vcc_lo, s0, v2
	v_add_co_ci_u32_e32 v3, vcc_lo, s1, v3, vcc_lo
	global_load_b128 v[2:5], v[2:3], off
	s_waitcnt vmcnt(0)
	global_store_b128 v[0:1], v[2:5], off glc slc dlc
.LBB24_10:
	s_or_b32 exec_lo, exec_lo, s4
                                        ; implicit-def: $vgpr2_vgpr3
                                        ; implicit-def: $vgpr0_vgpr1
.LBB24_11:
	s_and_not1_saveexec_b32 s3, s3
	s_cbranch_execz .LBB24_13
; %bb.12:
	v_add_co_u32 v2, vcc_lo, s0, v2
	v_add_co_ci_u32_e32 v3, vcc_lo, s1, v3, vcc_lo
	global_load_b128 v[2:5], v[2:3], off
	s_waitcnt vmcnt(0)
	global_store_b128 v[0:1], v[2:5], off
.LBB24_13:
	s_or_b32 exec_lo, exec_lo, s3
                                        ; implicit-def: $vgpr2_vgpr3
                                        ; implicit-def: $vgpr0_vgpr1
                                        ; implicit-def: $vgpr4
.LBB24_14:
	s_and_not1_saveexec_b32 s2, s2
	s_cbranch_execz .LBB24_19
; %bb.15:
	s_mov_b32 s2, exec_lo
	v_cmpx_lt_i32_e32 0, v4
	s_xor_b32 s2, exec_lo, s2
	s_cbranch_execz .LBB24_17
; %bb.16:
	v_add_co_u32 v2, vcc_lo, s0, v2
	v_add_co_ci_u32_e32 v3, vcc_lo, s1, v3, vcc_lo
	global_load_b128 v[2:5], v[2:3], off
	s_waitcnt vmcnt(0)
	global_store_b128 v[0:1], v[2:5], off
                                        ; implicit-def: $vgpr2_vgpr3
                                        ; implicit-def: $vgpr0_vgpr1
.LBB24_17:
	s_and_not1_saveexec_b32 s2, s2
	s_cbranch_execz .LBB24_19
; %bb.18:
	v_add_co_u32 v2, vcc_lo, s0, v2
	v_add_co_ci_u32_e32 v3, vcc_lo, s1, v3, vcc_lo
	global_load_b128 v[2:5], v[2:3], off
	s_waitcnt vmcnt(0)
	global_store_b128 v[0:1], v[2:5], off
.LBB24_19:
	s_endpgm
	.section	.rodata,"a",@progbits
	.p2align	6, 0x0
	.amdhsa_kernel _Z19thread_store_kernelIoEvPT_S1_
		.amdhsa_group_segment_fixed_size 0
		.amdhsa_private_segment_fixed_size 0
		.amdhsa_kernarg_size 272
		.amdhsa_user_sgpr_count 15
		.amdhsa_user_sgpr_dispatch_ptr 0
		.amdhsa_user_sgpr_queue_ptr 0
		.amdhsa_user_sgpr_kernarg_segment_ptr 1
		.amdhsa_user_sgpr_dispatch_id 0
		.amdhsa_user_sgpr_private_segment_size 0
		.amdhsa_wavefront_size32 1
		.amdhsa_uses_dynamic_stack 0
		.amdhsa_enable_private_segment 0
		.amdhsa_system_sgpr_workgroup_id_x 1
		.amdhsa_system_sgpr_workgroup_id_y 0
		.amdhsa_system_sgpr_workgroup_id_z 0
		.amdhsa_system_sgpr_workgroup_info 0
		.amdhsa_system_vgpr_workitem_id 0
		.amdhsa_next_free_vgpr 6
		.amdhsa_next_free_sgpr 16
		.amdhsa_reserve_vcc 1
		.amdhsa_float_round_mode_32 0
		.amdhsa_float_round_mode_16_64 0
		.amdhsa_float_denorm_mode_32 3
		.amdhsa_float_denorm_mode_16_64 3
		.amdhsa_dx10_clamp 1
		.amdhsa_ieee_mode 1
		.amdhsa_fp16_overflow 0
		.amdhsa_workgroup_processor_mode 1
		.amdhsa_memory_ordered 1
		.amdhsa_forward_progress 0
		.amdhsa_shared_vgpr_count 0
		.amdhsa_exception_fp_ieee_invalid_op 0
		.amdhsa_exception_fp_denorm_src 0
		.amdhsa_exception_fp_ieee_div_zero 0
		.amdhsa_exception_fp_ieee_overflow 0
		.amdhsa_exception_fp_ieee_underflow 0
		.amdhsa_exception_fp_ieee_inexact 0
		.amdhsa_exception_int_div_zero 0
	.end_amdhsa_kernel
	.section	.text._Z19thread_store_kernelIoEvPT_S1_,"axG",@progbits,_Z19thread_store_kernelIoEvPT_S1_,comdat
.Lfunc_end24:
	.size	_Z19thread_store_kernelIoEvPT_S1_, .Lfunc_end24-_Z19thread_store_kernelIoEvPT_S1_
                                        ; -- End function
	.section	.AMDGPU.csdata,"",@progbits
; Kernel info:
; codeLenInByte = 488
; NumSgprs: 18
; NumVgprs: 6
; ScratchSize: 0
; MemoryBound: 1
; FloatMode: 240
; IeeeMode: 1
; LDSByteSize: 0 bytes/workgroup (compile time only)
; SGPRBlocks: 2
; VGPRBlocks: 0
; NumSGPRsForWavesPerEU: 18
; NumVGPRsForWavesPerEU: 6
; Occupancy: 16
; WaveLimiterHint : 0
; COMPUTE_PGM_RSRC2:SCRATCH_EN: 0
; COMPUTE_PGM_RSRC2:USER_SGPR: 15
; COMPUTE_PGM_RSRC2:TRAP_HANDLER: 0
; COMPUTE_PGM_RSRC2:TGID_X_EN: 1
; COMPUTE_PGM_RSRC2:TGID_Y_EN: 0
; COMPUTE_PGM_RSRC2:TGID_Z_EN: 0
; COMPUTE_PGM_RSRC2:TIDIG_COMP_CNT: 0
	.section	.text._Z19thread_store_kernelIN6common11custom_typeIddLb1EEEEvPT_S4_,"axG",@progbits,_Z19thread_store_kernelIN6common11custom_typeIddLb1EEEEvPT_S4_,comdat
	.protected	_Z19thread_store_kernelIN6common11custom_typeIddLb1EEEEvPT_S4_ ; -- Begin function _Z19thread_store_kernelIN6common11custom_typeIddLb1EEEEvPT_S4_
	.globl	_Z19thread_store_kernelIN6common11custom_typeIddLb1EEEEvPT_S4_
	.p2align	8
	.type	_Z19thread_store_kernelIN6common11custom_typeIddLb1EEEEvPT_S4_,@function
_Z19thread_store_kernelIN6common11custom_typeIddLb1EEEEvPT_S4_: ; @_Z19thread_store_kernelIN6common11custom_typeIddLb1EEEEvPT_S4_
; %bb.0:
	s_load_b32 s2, s[0:1], 0x1c
	s_waitcnt lgkmcnt(0)
	s_and_b32 s2, s2, 0xffff
	s_delay_alu instid0(SALU_CYCLE_1) | instskip(SKIP_1) | instid1(VALU_DEP_1)
	v_mad_u64_u32 v[1:2], null, s15, s2, v[0:1]
	s_load_b128 s[0:3], s[0:1], 0x0
	v_mul_hi_u32 v0, 0x24924925, v1
	s_delay_alu instid0(VALU_DEP_1) | instskip(NEXT) | instid1(VALU_DEP_1)
	v_sub_nc_u32_e32 v2, v1, v0
	v_lshrrev_b32_e32 v2, 1, v2
	s_delay_alu instid0(VALU_DEP_1) | instskip(SKIP_1) | instid1(VALU_DEP_2)
	v_add_nc_u32_e32 v0, v2, v0
	v_mov_b32_e32 v2, 0
	v_lshrrev_b32_e32 v0, 2, v0
	s_delay_alu instid0(VALU_DEP_2) | instskip(NEXT) | instid1(VALU_DEP_2)
	v_lshlrev_b64 v[2:3], 4, v[1:2]
	v_mul_lo_u32 v0, v0, 7
	s_delay_alu instid0(VALU_DEP_1) | instskip(SKIP_1) | instid1(VALU_DEP_3)
	v_sub_nc_u32_e32 v4, v1, v0
	s_waitcnt lgkmcnt(0)
	v_add_co_u32 v0, vcc_lo, s2, v2
	s_delay_alu instid0(VALU_DEP_4)
	v_add_co_ci_u32_e32 v1, vcc_lo, s3, v3, vcc_lo
	s_mov_b32 s2, exec_lo
	v_cmpx_lt_i32_e32 1, v4
	s_xor_b32 s2, exec_lo, s2
	s_cbranch_execz .LBB25_14
; %bb.1:
	s_mov_b32 s3, exec_lo
	v_cmpx_lt_i32_e32 2, v4
	s_xor_b32 s3, exec_lo, s3
	s_cbranch_execz .LBB25_11
; %bb.2:
	;; [unrolled: 5-line block ×3, first 2 shown]
	s_mov_b32 s5, exec_lo
	v_cmpx_ne_u32_e32 4, v4
	s_xor_b32 s5, exec_lo, s5
	s_cbranch_execz .LBB25_5
; %bb.4:
	v_add_co_u32 v2, vcc_lo, s0, v2
	v_add_co_ci_u32_e32 v3, vcc_lo, s1, v3, vcc_lo
	global_load_b128 v[2:5], v[2:3], off
	s_waitcnt vmcnt(0)
	flat_store_b64 v[0:1], v[4:5] offset:8 dlc
	s_waitcnt_vscnt null, 0x0
	flat_store_b64 v[0:1], v[2:3] dlc
	s_waitcnt_vscnt null, 0x0
                                        ; implicit-def: $vgpr2_vgpr3
                                        ; implicit-def: $vgpr0_vgpr1
.LBB25_5:
	s_and_not1_saveexec_b32 s5, s5
	s_cbranch_execz .LBB25_7
; %bb.6:
	v_add_co_u32 v2, vcc_lo, s0, v2
	v_add_co_ci_u32_e32 v3, vcc_lo, s1, v3, vcc_lo
	global_load_b128 v[2:5], v[2:3], off
	s_waitcnt vmcnt(0)
	flat_store_b64 v[0:1], v[4:5] offset:8 dlc
	s_waitcnt_vscnt null, 0x0
	flat_store_b64 v[0:1], v[2:3] dlc
	s_waitcnt_vscnt null, 0x0
.LBB25_7:
	s_or_b32 exec_lo, exec_lo, s5
                                        ; implicit-def: $vgpr2_vgpr3
                                        ; implicit-def: $vgpr0_vgpr1
.LBB25_8:
	s_and_not1_saveexec_b32 s4, s4
	s_cbranch_execz .LBB25_10
; %bb.9:
	v_add_co_u32 v2, vcc_lo, s0, v2
	v_add_co_ci_u32_e32 v3, vcc_lo, s1, v3, vcc_lo
	global_load_b128 v[2:5], v[2:3], off
	s_waitcnt vmcnt(0)
	global_store_b128 v[0:1], v[2:5], off glc slc dlc
.LBB25_10:
	s_or_b32 exec_lo, exec_lo, s4
                                        ; implicit-def: $vgpr2_vgpr3
                                        ; implicit-def: $vgpr0_vgpr1
.LBB25_11:
	s_and_not1_saveexec_b32 s3, s3
	s_cbranch_execz .LBB25_13
; %bb.12:
	v_add_co_u32 v2, vcc_lo, s0, v2
	v_add_co_ci_u32_e32 v3, vcc_lo, s1, v3, vcc_lo
	global_load_b128 v[2:5], v[2:3], off
	s_waitcnt vmcnt(0)
	global_store_b128 v[0:1], v[2:5], off
.LBB25_13:
	s_or_b32 exec_lo, exec_lo, s3
                                        ; implicit-def: $vgpr2_vgpr3
                                        ; implicit-def: $vgpr0_vgpr1
                                        ; implicit-def: $vgpr4
.LBB25_14:
	s_and_not1_saveexec_b32 s2, s2
	s_cbranch_execz .LBB25_19
; %bb.15:
	s_mov_b32 s2, exec_lo
	v_cmpx_lt_i32_e32 0, v4
	s_xor_b32 s2, exec_lo, s2
	s_cbranch_execz .LBB25_17
; %bb.16:
	v_add_co_u32 v2, vcc_lo, s0, v2
	v_add_co_ci_u32_e32 v3, vcc_lo, s1, v3, vcc_lo
	global_load_b128 v[2:5], v[2:3], off
	s_waitcnt vmcnt(0)
	global_store_b128 v[0:1], v[2:5], off
                                        ; implicit-def: $vgpr2_vgpr3
                                        ; implicit-def: $vgpr0_vgpr1
.LBB25_17:
	s_and_not1_saveexec_b32 s2, s2
	s_cbranch_execz .LBB25_19
; %bb.18:
	v_add_co_u32 v2, vcc_lo, s0, v2
	v_add_co_ci_u32_e32 v3, vcc_lo, s1, v3, vcc_lo
	global_load_b128 v[2:5], v[2:3], off
	s_waitcnt vmcnt(0)
	global_store_b128 v[0:1], v[2:5], off
.LBB25_19:
	s_endpgm
	.section	.rodata,"a",@progbits
	.p2align	6, 0x0
	.amdhsa_kernel _Z19thread_store_kernelIN6common11custom_typeIddLb1EEEEvPT_S4_
		.amdhsa_group_segment_fixed_size 0
		.amdhsa_private_segment_fixed_size 0
		.amdhsa_kernarg_size 272
		.amdhsa_user_sgpr_count 15
		.amdhsa_user_sgpr_dispatch_ptr 0
		.amdhsa_user_sgpr_queue_ptr 0
		.amdhsa_user_sgpr_kernarg_segment_ptr 1
		.amdhsa_user_sgpr_dispatch_id 0
		.amdhsa_user_sgpr_private_segment_size 0
		.amdhsa_wavefront_size32 1
		.amdhsa_uses_dynamic_stack 0
		.amdhsa_enable_private_segment 0
		.amdhsa_system_sgpr_workgroup_id_x 1
		.amdhsa_system_sgpr_workgroup_id_y 0
		.amdhsa_system_sgpr_workgroup_id_z 0
		.amdhsa_system_sgpr_workgroup_info 0
		.amdhsa_system_vgpr_workitem_id 0
		.amdhsa_next_free_vgpr 6
		.amdhsa_next_free_sgpr 16
		.amdhsa_reserve_vcc 1
		.amdhsa_float_round_mode_32 0
		.amdhsa_float_round_mode_16_64 0
		.amdhsa_float_denorm_mode_32 3
		.amdhsa_float_denorm_mode_16_64 3
		.amdhsa_dx10_clamp 1
		.amdhsa_ieee_mode 1
		.amdhsa_fp16_overflow 0
		.amdhsa_workgroup_processor_mode 1
		.amdhsa_memory_ordered 1
		.amdhsa_forward_progress 0
		.amdhsa_shared_vgpr_count 0
		.amdhsa_exception_fp_ieee_invalid_op 0
		.amdhsa_exception_fp_denorm_src 0
		.amdhsa_exception_fp_ieee_div_zero 0
		.amdhsa_exception_fp_ieee_overflow 0
		.amdhsa_exception_fp_ieee_underflow 0
		.amdhsa_exception_fp_ieee_inexact 0
		.amdhsa_exception_int_div_zero 0
	.end_amdhsa_kernel
	.section	.text._Z19thread_store_kernelIN6common11custom_typeIddLb1EEEEvPT_S4_,"axG",@progbits,_Z19thread_store_kernelIN6common11custom_typeIddLb1EEEEvPT_S4_,comdat
.Lfunc_end25:
	.size	_Z19thread_store_kernelIN6common11custom_typeIddLb1EEEEvPT_S4_, .Lfunc_end25-_Z19thread_store_kernelIN6common11custom_typeIddLb1EEEEvPT_S4_
                                        ; -- End function
	.section	.AMDGPU.csdata,"",@progbits
; Kernel info:
; codeLenInByte = 488
; NumSgprs: 18
; NumVgprs: 6
; ScratchSize: 0
; MemoryBound: 0
; FloatMode: 240
; IeeeMode: 1
; LDSByteSize: 0 bytes/workgroup (compile time only)
; SGPRBlocks: 2
; VGPRBlocks: 0
; NumSGPRsForWavesPerEU: 18
; NumVGPRsForWavesPerEU: 6
; Occupancy: 16
; WaveLimiterHint : 0
; COMPUTE_PGM_RSRC2:SCRATCH_EN: 0
; COMPUTE_PGM_RSRC2:USER_SGPR: 15
; COMPUTE_PGM_RSRC2:TRAP_HANDLER: 0
; COMPUTE_PGM_RSRC2:TGID_X_EN: 1
; COMPUTE_PGM_RSRC2:TGID_Y_EN: 0
; COMPUTE_PGM_RSRC2:TGID_Z_EN: 0
; COMPUTE_PGM_RSRC2:TIDIG_COMP_CNT: 0
	.section	.text._Z19thread_store_kernelIN6common11custom_typeImmLb1EEEEvPT_S4_,"axG",@progbits,_Z19thread_store_kernelIN6common11custom_typeImmLb1EEEEvPT_S4_,comdat
	.protected	_Z19thread_store_kernelIN6common11custom_typeImmLb1EEEEvPT_S4_ ; -- Begin function _Z19thread_store_kernelIN6common11custom_typeImmLb1EEEEvPT_S4_
	.globl	_Z19thread_store_kernelIN6common11custom_typeImmLb1EEEEvPT_S4_
	.p2align	8
	.type	_Z19thread_store_kernelIN6common11custom_typeImmLb1EEEEvPT_S4_,@function
_Z19thread_store_kernelIN6common11custom_typeImmLb1EEEEvPT_S4_: ; @_Z19thread_store_kernelIN6common11custom_typeImmLb1EEEEvPT_S4_
; %bb.0:
	s_load_b32 s2, s[0:1], 0x1c
	s_waitcnt lgkmcnt(0)
	s_and_b32 s2, s2, 0xffff
	s_delay_alu instid0(SALU_CYCLE_1) | instskip(SKIP_1) | instid1(VALU_DEP_1)
	v_mad_u64_u32 v[1:2], null, s15, s2, v[0:1]
	s_load_b128 s[0:3], s[0:1], 0x0
	v_mul_hi_u32 v0, 0x24924925, v1
	s_delay_alu instid0(VALU_DEP_1) | instskip(NEXT) | instid1(VALU_DEP_1)
	v_sub_nc_u32_e32 v2, v1, v0
	v_lshrrev_b32_e32 v2, 1, v2
	s_delay_alu instid0(VALU_DEP_1) | instskip(SKIP_1) | instid1(VALU_DEP_2)
	v_add_nc_u32_e32 v0, v2, v0
	v_mov_b32_e32 v2, 0
	v_lshrrev_b32_e32 v0, 2, v0
	s_delay_alu instid0(VALU_DEP_2) | instskip(NEXT) | instid1(VALU_DEP_2)
	v_lshlrev_b64 v[2:3], 4, v[1:2]
	v_mul_lo_u32 v0, v0, 7
	s_delay_alu instid0(VALU_DEP_1) | instskip(SKIP_1) | instid1(VALU_DEP_3)
	v_sub_nc_u32_e32 v4, v1, v0
	s_waitcnt lgkmcnt(0)
	v_add_co_u32 v0, vcc_lo, s2, v2
	s_delay_alu instid0(VALU_DEP_4)
	v_add_co_ci_u32_e32 v1, vcc_lo, s3, v3, vcc_lo
	s_mov_b32 s2, exec_lo
	v_cmpx_lt_i32_e32 1, v4
	s_xor_b32 s2, exec_lo, s2
	s_cbranch_execz .LBB26_14
; %bb.1:
	s_mov_b32 s3, exec_lo
	v_cmpx_lt_i32_e32 2, v4
	s_xor_b32 s3, exec_lo, s3
	s_cbranch_execz .LBB26_11
; %bb.2:
	;; [unrolled: 5-line block ×3, first 2 shown]
	s_mov_b32 s5, exec_lo
	v_cmpx_ne_u32_e32 4, v4
	s_xor_b32 s5, exec_lo, s5
	s_cbranch_execz .LBB26_5
; %bb.4:
	v_add_co_u32 v2, vcc_lo, s0, v2
	v_add_co_ci_u32_e32 v3, vcc_lo, s1, v3, vcc_lo
	global_load_b128 v[2:5], v[2:3], off
	s_waitcnt vmcnt(0)
	flat_store_b64 v[0:1], v[4:5] offset:8 dlc
	s_waitcnt_vscnt null, 0x0
	flat_store_b64 v[0:1], v[2:3] dlc
	s_waitcnt_vscnt null, 0x0
                                        ; implicit-def: $vgpr2_vgpr3
                                        ; implicit-def: $vgpr0_vgpr1
.LBB26_5:
	s_and_not1_saveexec_b32 s5, s5
	s_cbranch_execz .LBB26_7
; %bb.6:
	v_add_co_u32 v2, vcc_lo, s0, v2
	v_add_co_ci_u32_e32 v3, vcc_lo, s1, v3, vcc_lo
	global_load_b128 v[2:5], v[2:3], off
	s_waitcnt vmcnt(0)
	flat_store_b64 v[0:1], v[4:5] offset:8 dlc
	s_waitcnt_vscnt null, 0x0
	flat_store_b64 v[0:1], v[2:3] dlc
	s_waitcnt_vscnt null, 0x0
.LBB26_7:
	s_or_b32 exec_lo, exec_lo, s5
                                        ; implicit-def: $vgpr2_vgpr3
                                        ; implicit-def: $vgpr0_vgpr1
.LBB26_8:
	s_and_not1_saveexec_b32 s4, s4
	s_cbranch_execz .LBB26_10
; %bb.9:
	v_add_co_u32 v2, vcc_lo, s0, v2
	v_add_co_ci_u32_e32 v3, vcc_lo, s1, v3, vcc_lo
	global_load_b128 v[2:5], v[2:3], off
	s_waitcnt vmcnt(0)
	global_store_b128 v[0:1], v[2:5], off glc slc dlc
.LBB26_10:
	s_or_b32 exec_lo, exec_lo, s4
                                        ; implicit-def: $vgpr2_vgpr3
                                        ; implicit-def: $vgpr0_vgpr1
.LBB26_11:
	s_and_not1_saveexec_b32 s3, s3
	s_cbranch_execz .LBB26_13
; %bb.12:
	v_add_co_u32 v2, vcc_lo, s0, v2
	v_add_co_ci_u32_e32 v3, vcc_lo, s1, v3, vcc_lo
	global_load_b128 v[2:5], v[2:3], off
	s_waitcnt vmcnt(0)
	global_store_b128 v[0:1], v[2:5], off
.LBB26_13:
	s_or_b32 exec_lo, exec_lo, s3
                                        ; implicit-def: $vgpr2_vgpr3
                                        ; implicit-def: $vgpr0_vgpr1
                                        ; implicit-def: $vgpr4
.LBB26_14:
	s_and_not1_saveexec_b32 s2, s2
	s_cbranch_execz .LBB26_19
; %bb.15:
	s_mov_b32 s2, exec_lo
	v_cmpx_lt_i32_e32 0, v4
	s_xor_b32 s2, exec_lo, s2
	s_cbranch_execz .LBB26_17
; %bb.16:
	v_add_co_u32 v2, vcc_lo, s0, v2
	v_add_co_ci_u32_e32 v3, vcc_lo, s1, v3, vcc_lo
	global_load_b128 v[2:5], v[2:3], off
	s_waitcnt vmcnt(0)
	global_store_b128 v[0:1], v[2:5], off
                                        ; implicit-def: $vgpr2_vgpr3
                                        ; implicit-def: $vgpr0_vgpr1
.LBB26_17:
	s_and_not1_saveexec_b32 s2, s2
	s_cbranch_execz .LBB26_19
; %bb.18:
	v_add_co_u32 v2, vcc_lo, s0, v2
	v_add_co_ci_u32_e32 v3, vcc_lo, s1, v3, vcc_lo
	global_load_b128 v[2:5], v[2:3], off
	s_waitcnt vmcnt(0)
	global_store_b128 v[0:1], v[2:5], off
.LBB26_19:
	s_endpgm
	.section	.rodata,"a",@progbits
	.p2align	6, 0x0
	.amdhsa_kernel _Z19thread_store_kernelIN6common11custom_typeImmLb1EEEEvPT_S4_
		.amdhsa_group_segment_fixed_size 0
		.amdhsa_private_segment_fixed_size 0
		.amdhsa_kernarg_size 272
		.amdhsa_user_sgpr_count 15
		.amdhsa_user_sgpr_dispatch_ptr 0
		.amdhsa_user_sgpr_queue_ptr 0
		.amdhsa_user_sgpr_kernarg_segment_ptr 1
		.amdhsa_user_sgpr_dispatch_id 0
		.amdhsa_user_sgpr_private_segment_size 0
		.amdhsa_wavefront_size32 1
		.amdhsa_uses_dynamic_stack 0
		.amdhsa_enable_private_segment 0
		.amdhsa_system_sgpr_workgroup_id_x 1
		.amdhsa_system_sgpr_workgroup_id_y 0
		.amdhsa_system_sgpr_workgroup_id_z 0
		.amdhsa_system_sgpr_workgroup_info 0
		.amdhsa_system_vgpr_workitem_id 0
		.amdhsa_next_free_vgpr 6
		.amdhsa_next_free_sgpr 16
		.amdhsa_reserve_vcc 1
		.amdhsa_float_round_mode_32 0
		.amdhsa_float_round_mode_16_64 0
		.amdhsa_float_denorm_mode_32 3
		.amdhsa_float_denorm_mode_16_64 3
		.amdhsa_dx10_clamp 1
		.amdhsa_ieee_mode 1
		.amdhsa_fp16_overflow 0
		.amdhsa_workgroup_processor_mode 1
		.amdhsa_memory_ordered 1
		.amdhsa_forward_progress 0
		.amdhsa_shared_vgpr_count 0
		.amdhsa_exception_fp_ieee_invalid_op 0
		.amdhsa_exception_fp_denorm_src 0
		.amdhsa_exception_fp_ieee_div_zero 0
		.amdhsa_exception_fp_ieee_overflow 0
		.amdhsa_exception_fp_ieee_underflow 0
		.amdhsa_exception_fp_ieee_inexact 0
		.amdhsa_exception_int_div_zero 0
	.end_amdhsa_kernel
	.section	.text._Z19thread_store_kernelIN6common11custom_typeImmLb1EEEEvPT_S4_,"axG",@progbits,_Z19thread_store_kernelIN6common11custom_typeImmLb1EEEEvPT_S4_,comdat
.Lfunc_end26:
	.size	_Z19thread_store_kernelIN6common11custom_typeImmLb1EEEEvPT_S4_, .Lfunc_end26-_Z19thread_store_kernelIN6common11custom_typeImmLb1EEEEvPT_S4_
                                        ; -- End function
	.section	.AMDGPU.csdata,"",@progbits
; Kernel info:
; codeLenInByte = 488
; NumSgprs: 18
; NumVgprs: 6
; ScratchSize: 0
; MemoryBound: 0
; FloatMode: 240
; IeeeMode: 1
; LDSByteSize: 0 bytes/workgroup (compile time only)
; SGPRBlocks: 2
; VGPRBlocks: 0
; NumSGPRsForWavesPerEU: 18
; NumVGPRsForWavesPerEU: 6
; Occupancy: 16
; WaveLimiterHint : 0
; COMPUTE_PGM_RSRC2:SCRATCH_EN: 0
; COMPUTE_PGM_RSRC2:USER_SGPR: 15
; COMPUTE_PGM_RSRC2:TRAP_HANDLER: 0
; COMPUTE_PGM_RSRC2:TGID_X_EN: 1
; COMPUTE_PGM_RSRC2:TGID_Y_EN: 0
; COMPUTE_PGM_RSRC2:TGID_Z_EN: 0
; COMPUTE_PGM_RSRC2:TIDIG_COMP_CNT: 0
	.section	.text._Z19thread_store_kernelIdEvPT_S1_,"axG",@progbits,_Z19thread_store_kernelIdEvPT_S1_,comdat
	.protected	_Z19thread_store_kernelIdEvPT_S1_ ; -- Begin function _Z19thread_store_kernelIdEvPT_S1_
	.globl	_Z19thread_store_kernelIdEvPT_S1_
	.p2align	8
	.type	_Z19thread_store_kernelIdEvPT_S1_,@function
_Z19thread_store_kernelIdEvPT_S1_:      ; @_Z19thread_store_kernelIdEvPT_S1_
; %bb.0:
	s_load_b32 s2, s[0:1], 0x1c
	s_waitcnt lgkmcnt(0)
	s_and_b32 s2, s2, 0xffff
	s_delay_alu instid0(SALU_CYCLE_1) | instskip(SKIP_1) | instid1(VALU_DEP_1)
	v_mad_u64_u32 v[1:2], null, s15, s2, v[0:1]
	s_load_b128 s[0:3], s[0:1], 0x0
	v_mul_hi_u32 v0, 0x24924925, v1
	s_delay_alu instid0(VALU_DEP_1) | instskip(NEXT) | instid1(VALU_DEP_1)
	v_sub_nc_u32_e32 v2, v1, v0
	v_lshrrev_b32_e32 v2, 1, v2
	s_delay_alu instid0(VALU_DEP_1) | instskip(SKIP_1) | instid1(VALU_DEP_2)
	v_add_nc_u32_e32 v0, v2, v0
	v_mov_b32_e32 v2, 0
	v_lshrrev_b32_e32 v0, 2, v0
	s_delay_alu instid0(VALU_DEP_2) | instskip(NEXT) | instid1(VALU_DEP_2)
	v_lshlrev_b64 v[2:3], 3, v[1:2]
	v_mul_lo_u32 v0, v0, 7
	s_delay_alu instid0(VALU_DEP_1) | instskip(SKIP_1) | instid1(VALU_DEP_3)
	v_sub_nc_u32_e32 v4, v1, v0
	s_waitcnt lgkmcnt(0)
	v_add_co_u32 v0, vcc_lo, s2, v2
	s_delay_alu instid0(VALU_DEP_4)
	v_add_co_ci_u32_e32 v1, vcc_lo, s3, v3, vcc_lo
	s_mov_b32 s2, exec_lo
	v_cmpx_lt_i32_e32 1, v4
	s_xor_b32 s2, exec_lo, s2
	s_cbranch_execz .LBB27_14
; %bb.1:
	s_mov_b32 s3, exec_lo
	v_cmpx_lt_i32_e32 2, v4
	s_xor_b32 s3, exec_lo, s3
	s_cbranch_execz .LBB27_11
; %bb.2:
	;; [unrolled: 5-line block ×3, first 2 shown]
	s_mov_b32 s5, exec_lo
	v_cmpx_ne_u32_e32 4, v4
	s_xor_b32 s5, exec_lo, s5
	s_cbranch_execz .LBB27_5
; %bb.4:
	v_add_co_u32 v2, vcc_lo, s0, v2
	v_add_co_ci_u32_e32 v3, vcc_lo, s1, v3, vcc_lo
	global_load_b64 v[2:3], v[2:3], off
	s_waitcnt vmcnt(0)
	flat_store_b64 v[0:1], v[2:3] dlc
	s_waitcnt_vscnt null, 0x0
                                        ; implicit-def: $vgpr2_vgpr3
                                        ; implicit-def: $vgpr0_vgpr1
.LBB27_5:
	s_and_not1_saveexec_b32 s5, s5
	s_cbranch_execz .LBB27_7
; %bb.6:
	v_add_co_u32 v2, vcc_lo, s0, v2
	v_add_co_ci_u32_e32 v3, vcc_lo, s1, v3, vcc_lo
	global_load_b64 v[2:3], v[2:3], off
	s_waitcnt vmcnt(0)
	flat_store_b64 v[0:1], v[2:3] dlc
	s_waitcnt_vscnt null, 0x0
.LBB27_7:
	s_or_b32 exec_lo, exec_lo, s5
                                        ; implicit-def: $vgpr2_vgpr3
                                        ; implicit-def: $vgpr0_vgpr1
.LBB27_8:
	s_and_not1_saveexec_b32 s4, s4
	s_cbranch_execz .LBB27_10
; %bb.9:
	v_add_co_u32 v2, vcc_lo, s0, v2
	v_add_co_ci_u32_e32 v3, vcc_lo, s1, v3, vcc_lo
	global_load_b64 v[2:3], v[2:3], off
	s_waitcnt vmcnt(0)
	global_store_b64 v[0:1], v[2:3], off glc slc dlc
.LBB27_10:
	s_or_b32 exec_lo, exec_lo, s4
                                        ; implicit-def: $vgpr2_vgpr3
                                        ; implicit-def: $vgpr0_vgpr1
.LBB27_11:
	s_and_not1_saveexec_b32 s3, s3
	s_cbranch_execz .LBB27_13
; %bb.12:
	v_add_co_u32 v2, vcc_lo, s0, v2
	v_add_co_ci_u32_e32 v3, vcc_lo, s1, v3, vcc_lo
	global_load_b64 v[2:3], v[2:3], off
	s_waitcnt vmcnt(0)
	global_store_b64 v[0:1], v[2:3], off
.LBB27_13:
	s_or_b32 exec_lo, exec_lo, s3
                                        ; implicit-def: $vgpr2_vgpr3
                                        ; implicit-def: $vgpr0_vgpr1
                                        ; implicit-def: $vgpr4
.LBB27_14:
	s_and_not1_saveexec_b32 s2, s2
	s_cbranch_execz .LBB27_19
; %bb.15:
	s_mov_b32 s2, exec_lo
	v_cmpx_lt_i32_e32 0, v4
	s_xor_b32 s2, exec_lo, s2
	s_cbranch_execz .LBB27_17
; %bb.16:
	v_add_co_u32 v2, vcc_lo, s0, v2
	v_add_co_ci_u32_e32 v3, vcc_lo, s1, v3, vcc_lo
	global_load_b64 v[2:3], v[2:3], off
	s_waitcnt vmcnt(0)
	global_store_b64 v[0:1], v[2:3], off
                                        ; implicit-def: $vgpr2_vgpr3
                                        ; implicit-def: $vgpr0_vgpr1
.LBB27_17:
	s_and_not1_saveexec_b32 s2, s2
	s_cbranch_execz .LBB27_19
; %bb.18:
	v_add_co_u32 v2, vcc_lo, s0, v2
	v_add_co_ci_u32_e32 v3, vcc_lo, s1, v3, vcc_lo
	global_load_b64 v[2:3], v[2:3], off
	s_waitcnt vmcnt(0)
	global_store_b64 v[0:1], v[2:3], off
.LBB27_19:
	s_endpgm
	.section	.rodata,"a",@progbits
	.p2align	6, 0x0
	.amdhsa_kernel _Z19thread_store_kernelIdEvPT_S1_
		.amdhsa_group_segment_fixed_size 0
		.amdhsa_private_segment_fixed_size 0
		.amdhsa_kernarg_size 272
		.amdhsa_user_sgpr_count 15
		.amdhsa_user_sgpr_dispatch_ptr 0
		.amdhsa_user_sgpr_queue_ptr 0
		.amdhsa_user_sgpr_kernarg_segment_ptr 1
		.amdhsa_user_sgpr_dispatch_id 0
		.amdhsa_user_sgpr_private_segment_size 0
		.amdhsa_wavefront_size32 1
		.amdhsa_uses_dynamic_stack 0
		.amdhsa_enable_private_segment 0
		.amdhsa_system_sgpr_workgroup_id_x 1
		.amdhsa_system_sgpr_workgroup_id_y 0
		.amdhsa_system_sgpr_workgroup_id_z 0
		.amdhsa_system_sgpr_workgroup_info 0
		.amdhsa_system_vgpr_workitem_id 0
		.amdhsa_next_free_vgpr 5
		.amdhsa_next_free_sgpr 16
		.amdhsa_reserve_vcc 1
		.amdhsa_float_round_mode_32 0
		.amdhsa_float_round_mode_16_64 0
		.amdhsa_float_denorm_mode_32 3
		.amdhsa_float_denorm_mode_16_64 3
		.amdhsa_dx10_clamp 1
		.amdhsa_ieee_mode 1
		.amdhsa_fp16_overflow 0
		.amdhsa_workgroup_processor_mode 1
		.amdhsa_memory_ordered 1
		.amdhsa_forward_progress 0
		.amdhsa_shared_vgpr_count 0
		.amdhsa_exception_fp_ieee_invalid_op 0
		.amdhsa_exception_fp_denorm_src 0
		.amdhsa_exception_fp_ieee_div_zero 0
		.amdhsa_exception_fp_ieee_overflow 0
		.amdhsa_exception_fp_ieee_underflow 0
		.amdhsa_exception_fp_ieee_inexact 0
		.amdhsa_exception_int_div_zero 0
	.end_amdhsa_kernel
	.section	.text._Z19thread_store_kernelIdEvPT_S1_,"axG",@progbits,_Z19thread_store_kernelIdEvPT_S1_,comdat
.Lfunc_end27:
	.size	_Z19thread_store_kernelIdEvPT_S1_, .Lfunc_end27-_Z19thread_store_kernelIdEvPT_S1_
                                        ; -- End function
	.section	.AMDGPU.csdata,"",@progbits
; Kernel info:
; codeLenInByte = 464
; NumSgprs: 18
; NumVgprs: 5
; ScratchSize: 0
; MemoryBound: 0
; FloatMode: 240
; IeeeMode: 1
; LDSByteSize: 0 bytes/workgroup (compile time only)
; SGPRBlocks: 2
; VGPRBlocks: 0
; NumSGPRsForWavesPerEU: 18
; NumVGPRsForWavesPerEU: 5
; Occupancy: 16
; WaveLimiterHint : 0
; COMPUTE_PGM_RSRC2:SCRATCH_EN: 0
; COMPUTE_PGM_RSRC2:USER_SGPR: 15
; COMPUTE_PGM_RSRC2:TRAP_HANDLER: 0
; COMPUTE_PGM_RSRC2:TGID_X_EN: 1
; COMPUTE_PGM_RSRC2:TGID_Y_EN: 0
; COMPUTE_PGM_RSRC2:TGID_Z_EN: 0
; COMPUTE_PGM_RSRC2:TIDIG_COMP_CNT: 0
	.section	.text._Z19thread_store_kernelIfEvPT_S1_,"axG",@progbits,_Z19thread_store_kernelIfEvPT_S1_,comdat
	.protected	_Z19thread_store_kernelIfEvPT_S1_ ; -- Begin function _Z19thread_store_kernelIfEvPT_S1_
	.globl	_Z19thread_store_kernelIfEvPT_S1_
	.p2align	8
	.type	_Z19thread_store_kernelIfEvPT_S1_,@function
_Z19thread_store_kernelIfEvPT_S1_:      ; @_Z19thread_store_kernelIfEvPT_S1_
; %bb.0:
	s_load_b32 s2, s[0:1], 0x1c
	s_waitcnt lgkmcnt(0)
	s_and_b32 s2, s2, 0xffff
	s_delay_alu instid0(SALU_CYCLE_1) | instskip(SKIP_1) | instid1(VALU_DEP_1)
	v_mad_u64_u32 v[1:2], null, s15, s2, v[0:1]
	s_load_b128 s[0:3], s[0:1], 0x0
	v_mul_hi_u32 v0, 0x24924925, v1
	s_delay_alu instid0(VALU_DEP_1) | instskip(NEXT) | instid1(VALU_DEP_1)
	v_sub_nc_u32_e32 v2, v1, v0
	v_lshrrev_b32_e32 v2, 1, v2
	s_delay_alu instid0(VALU_DEP_1) | instskip(SKIP_1) | instid1(VALU_DEP_2)
	v_add_nc_u32_e32 v0, v2, v0
	v_mov_b32_e32 v2, 0
	v_lshrrev_b32_e32 v0, 2, v0
	s_delay_alu instid0(VALU_DEP_2) | instskip(NEXT) | instid1(VALU_DEP_2)
	v_lshlrev_b64 v[2:3], 2, v[1:2]
	v_mul_lo_u32 v0, v0, 7
	s_delay_alu instid0(VALU_DEP_1) | instskip(SKIP_1) | instid1(VALU_DEP_3)
	v_sub_nc_u32_e32 v4, v1, v0
	s_waitcnt lgkmcnt(0)
	v_add_co_u32 v0, vcc_lo, s2, v2
	s_delay_alu instid0(VALU_DEP_4)
	v_add_co_ci_u32_e32 v1, vcc_lo, s3, v3, vcc_lo
	s_mov_b32 s2, exec_lo
	v_cmpx_lt_i32_e32 1, v4
	s_xor_b32 s2, exec_lo, s2
	s_cbranch_execz .LBB28_14
; %bb.1:
	s_mov_b32 s3, exec_lo
	v_cmpx_lt_i32_e32 2, v4
	s_xor_b32 s3, exec_lo, s3
	s_cbranch_execz .LBB28_11
; %bb.2:
	;; [unrolled: 5-line block ×3, first 2 shown]
	s_mov_b32 s5, exec_lo
	v_cmpx_ne_u32_e32 4, v4
	s_xor_b32 s5, exec_lo, s5
	s_cbranch_execz .LBB28_5
; %bb.4:
	v_add_co_u32 v2, vcc_lo, s0, v2
	v_add_co_ci_u32_e32 v3, vcc_lo, s1, v3, vcc_lo
	global_load_b32 v2, v[2:3], off
	s_waitcnt vmcnt(0)
	flat_store_b32 v[0:1], v2 dlc
	s_waitcnt_vscnt null, 0x0
                                        ; implicit-def: $vgpr2_vgpr3
                                        ; implicit-def: $vgpr0_vgpr1
.LBB28_5:
	s_and_not1_saveexec_b32 s5, s5
	s_cbranch_execz .LBB28_7
; %bb.6:
	v_add_co_u32 v2, vcc_lo, s0, v2
	v_add_co_ci_u32_e32 v3, vcc_lo, s1, v3, vcc_lo
	global_load_b32 v2, v[2:3], off
	s_waitcnt vmcnt(0)
	flat_store_b32 v[0:1], v2 dlc
	s_waitcnt_vscnt null, 0x0
.LBB28_7:
	s_or_b32 exec_lo, exec_lo, s5
                                        ; implicit-def: $vgpr2_vgpr3
                                        ; implicit-def: $vgpr0_vgpr1
.LBB28_8:
	s_and_not1_saveexec_b32 s4, s4
	s_cbranch_execz .LBB28_10
; %bb.9:
	v_add_co_u32 v2, vcc_lo, s0, v2
	v_add_co_ci_u32_e32 v3, vcc_lo, s1, v3, vcc_lo
	global_load_b32 v2, v[2:3], off
	s_waitcnt vmcnt(0)
	global_store_b32 v[0:1], v2, off glc slc dlc
.LBB28_10:
	s_or_b32 exec_lo, exec_lo, s4
                                        ; implicit-def: $vgpr2_vgpr3
                                        ; implicit-def: $vgpr0_vgpr1
.LBB28_11:
	s_and_not1_saveexec_b32 s3, s3
	s_cbranch_execz .LBB28_13
; %bb.12:
	v_add_co_u32 v2, vcc_lo, s0, v2
	v_add_co_ci_u32_e32 v3, vcc_lo, s1, v3, vcc_lo
	global_load_b32 v2, v[2:3], off
	s_waitcnt vmcnt(0)
	global_store_b32 v[0:1], v2, off
.LBB28_13:
	s_or_b32 exec_lo, exec_lo, s3
                                        ; implicit-def: $vgpr2_vgpr3
                                        ; implicit-def: $vgpr0_vgpr1
                                        ; implicit-def: $vgpr4
.LBB28_14:
	s_and_not1_saveexec_b32 s2, s2
	s_cbranch_execz .LBB28_19
; %bb.15:
	s_mov_b32 s2, exec_lo
	v_cmpx_lt_i32_e32 0, v4
	s_xor_b32 s2, exec_lo, s2
	s_cbranch_execz .LBB28_17
; %bb.16:
	v_add_co_u32 v2, vcc_lo, s0, v2
	v_add_co_ci_u32_e32 v3, vcc_lo, s1, v3, vcc_lo
	global_load_b32 v2, v[2:3], off
	s_waitcnt vmcnt(0)
	global_store_b32 v[0:1], v2, off
                                        ; implicit-def: $vgpr2_vgpr3
                                        ; implicit-def: $vgpr0_vgpr1
.LBB28_17:
	s_and_not1_saveexec_b32 s2, s2
	s_cbranch_execz .LBB28_19
; %bb.18:
	v_add_co_u32 v2, vcc_lo, s0, v2
	v_add_co_ci_u32_e32 v3, vcc_lo, s1, v3, vcc_lo
	global_load_b32 v2, v[2:3], off
	s_waitcnt vmcnt(0)
	global_store_b32 v[0:1], v2, off
.LBB28_19:
	s_endpgm
	.section	.rodata,"a",@progbits
	.p2align	6, 0x0
	.amdhsa_kernel _Z19thread_store_kernelIfEvPT_S1_
		.amdhsa_group_segment_fixed_size 0
		.amdhsa_private_segment_fixed_size 0
		.amdhsa_kernarg_size 272
		.amdhsa_user_sgpr_count 15
		.amdhsa_user_sgpr_dispatch_ptr 0
		.amdhsa_user_sgpr_queue_ptr 0
		.amdhsa_user_sgpr_kernarg_segment_ptr 1
		.amdhsa_user_sgpr_dispatch_id 0
		.amdhsa_user_sgpr_private_segment_size 0
		.amdhsa_wavefront_size32 1
		.amdhsa_uses_dynamic_stack 0
		.amdhsa_enable_private_segment 0
		.amdhsa_system_sgpr_workgroup_id_x 1
		.amdhsa_system_sgpr_workgroup_id_y 0
		.amdhsa_system_sgpr_workgroup_id_z 0
		.amdhsa_system_sgpr_workgroup_info 0
		.amdhsa_system_vgpr_workitem_id 0
		.amdhsa_next_free_vgpr 5
		.amdhsa_next_free_sgpr 16
		.amdhsa_reserve_vcc 1
		.amdhsa_float_round_mode_32 0
		.amdhsa_float_round_mode_16_64 0
		.amdhsa_float_denorm_mode_32 3
		.amdhsa_float_denorm_mode_16_64 3
		.amdhsa_dx10_clamp 1
		.amdhsa_ieee_mode 1
		.amdhsa_fp16_overflow 0
		.amdhsa_workgroup_processor_mode 1
		.amdhsa_memory_ordered 1
		.amdhsa_forward_progress 0
		.amdhsa_shared_vgpr_count 0
		.amdhsa_exception_fp_ieee_invalid_op 0
		.amdhsa_exception_fp_denorm_src 0
		.amdhsa_exception_fp_ieee_div_zero 0
		.amdhsa_exception_fp_ieee_overflow 0
		.amdhsa_exception_fp_ieee_underflow 0
		.amdhsa_exception_fp_ieee_inexact 0
		.amdhsa_exception_int_div_zero 0
	.end_amdhsa_kernel
	.section	.text._Z19thread_store_kernelIfEvPT_S1_,"axG",@progbits,_Z19thread_store_kernelIfEvPT_S1_,comdat
.Lfunc_end28:
	.size	_Z19thread_store_kernelIfEvPT_S1_, .Lfunc_end28-_Z19thread_store_kernelIfEvPT_S1_
                                        ; -- End function
	.section	.AMDGPU.csdata,"",@progbits
; Kernel info:
; codeLenInByte = 464
; NumSgprs: 18
; NumVgprs: 5
; ScratchSize: 0
; MemoryBound: 0
; FloatMode: 240
; IeeeMode: 1
; LDSByteSize: 0 bytes/workgroup (compile time only)
; SGPRBlocks: 2
; VGPRBlocks: 0
; NumSGPRsForWavesPerEU: 18
; NumVGPRsForWavesPerEU: 5
; Occupancy: 16
; WaveLimiterHint : 0
; COMPUTE_PGM_RSRC2:SCRATCH_EN: 0
; COMPUTE_PGM_RSRC2:USER_SGPR: 15
; COMPUTE_PGM_RSRC2:TRAP_HANDLER: 0
; COMPUTE_PGM_RSRC2:TGID_X_EN: 1
; COMPUTE_PGM_RSRC2:TGID_Y_EN: 0
; COMPUTE_PGM_RSRC2:TGID_Z_EN: 0
; COMPUTE_PGM_RSRC2:TIDIG_COMP_CNT: 0
	.section	.text._Z19thread_store_kernelI12hip_bfloat16EvPT_S2_,"axG",@progbits,_Z19thread_store_kernelI12hip_bfloat16EvPT_S2_,comdat
	.protected	_Z19thread_store_kernelI12hip_bfloat16EvPT_S2_ ; -- Begin function _Z19thread_store_kernelI12hip_bfloat16EvPT_S2_
	.globl	_Z19thread_store_kernelI12hip_bfloat16EvPT_S2_
	.p2align	8
	.type	_Z19thread_store_kernelI12hip_bfloat16EvPT_S2_,@function
_Z19thread_store_kernelI12hip_bfloat16EvPT_S2_: ; @_Z19thread_store_kernelI12hip_bfloat16EvPT_S2_
; %bb.0:
	s_load_b32 s2, s[0:1], 0x1c
	s_waitcnt lgkmcnt(0)
	s_and_b32 s2, s2, 0xffff
	s_delay_alu instid0(SALU_CYCLE_1) | instskip(SKIP_1) | instid1(VALU_DEP_1)
	v_mad_u64_u32 v[1:2], null, s15, s2, v[0:1]
	s_load_b128 s[0:3], s[0:1], 0x0
	v_mul_hi_u32 v0, 0x24924925, v1
	s_delay_alu instid0(VALU_DEP_1) | instskip(NEXT) | instid1(VALU_DEP_1)
	v_sub_nc_u32_e32 v2, v1, v0
	v_lshrrev_b32_e32 v2, 1, v2
	s_delay_alu instid0(VALU_DEP_1) | instskip(SKIP_1) | instid1(VALU_DEP_2)
	v_add_nc_u32_e32 v0, v2, v0
	v_mov_b32_e32 v2, 0
	v_lshrrev_b32_e32 v0, 2, v0
	s_delay_alu instid0(VALU_DEP_2) | instskip(NEXT) | instid1(VALU_DEP_2)
	v_lshlrev_b64 v[2:3], 1, v[1:2]
	v_mul_lo_u32 v0, v0, 7
	s_delay_alu instid0(VALU_DEP_1) | instskip(SKIP_1) | instid1(VALU_DEP_3)
	v_sub_nc_u32_e32 v4, v1, v0
	s_waitcnt lgkmcnt(0)
	v_add_co_u32 v0, vcc_lo, s2, v2
	s_delay_alu instid0(VALU_DEP_4)
	v_add_co_ci_u32_e32 v1, vcc_lo, s3, v3, vcc_lo
	s_mov_b32 s2, exec_lo
	v_cmpx_lt_i32_e32 1, v4
	s_xor_b32 s2, exec_lo, s2
	s_cbranch_execz .LBB29_14
; %bb.1:
	s_mov_b32 s3, exec_lo
	v_cmpx_lt_i32_e32 2, v4
	s_xor_b32 s3, exec_lo, s3
	s_cbranch_execz .LBB29_11
; %bb.2:
	;; [unrolled: 5-line block ×3, first 2 shown]
	s_mov_b32 s5, exec_lo
	v_cmpx_ne_u32_e32 4, v4
	s_xor_b32 s5, exec_lo, s5
	s_cbranch_execz .LBB29_5
; %bb.4:
	v_add_co_u32 v2, vcc_lo, s0, v2
	v_add_co_ci_u32_e32 v3, vcc_lo, s1, v3, vcc_lo
	global_load_u16 v2, v[2:3], off
	s_waitcnt vmcnt(0)
	flat_store_b16 v[0:1], v2 dlc
	s_waitcnt_vscnt null, 0x0
                                        ; implicit-def: $vgpr2_vgpr3
                                        ; implicit-def: $vgpr0_vgpr1
.LBB29_5:
	s_and_not1_saveexec_b32 s5, s5
	s_cbranch_execz .LBB29_7
; %bb.6:
	v_add_co_u32 v2, vcc_lo, s0, v2
	v_add_co_ci_u32_e32 v3, vcc_lo, s1, v3, vcc_lo
	global_load_u16 v2, v[2:3], off
	s_waitcnt vmcnt(0)
	flat_store_b16 v[0:1], v2 dlc
	s_waitcnt_vscnt null, 0x0
.LBB29_7:
	s_or_b32 exec_lo, exec_lo, s5
                                        ; implicit-def: $vgpr2_vgpr3
                                        ; implicit-def: $vgpr0_vgpr1
.LBB29_8:
	s_and_not1_saveexec_b32 s4, s4
	s_cbranch_execz .LBB29_10
; %bb.9:
	v_add_co_u32 v2, vcc_lo, s0, v2
	v_add_co_ci_u32_e32 v3, vcc_lo, s1, v3, vcc_lo
	global_load_u16 v2, v[2:3], off
	s_waitcnt vmcnt(0)
	global_store_b16 v[0:1], v2, off glc slc dlc
.LBB29_10:
	s_or_b32 exec_lo, exec_lo, s4
                                        ; implicit-def: $vgpr2_vgpr3
                                        ; implicit-def: $vgpr0_vgpr1
.LBB29_11:
	s_and_not1_saveexec_b32 s3, s3
	s_cbranch_execz .LBB29_13
; %bb.12:
	v_add_co_u32 v2, vcc_lo, s0, v2
	v_add_co_ci_u32_e32 v3, vcc_lo, s1, v3, vcc_lo
	global_load_u16 v2, v[2:3], off
	s_waitcnt vmcnt(0)
	global_store_b16 v[0:1], v2, off
.LBB29_13:
	s_or_b32 exec_lo, exec_lo, s3
                                        ; implicit-def: $vgpr2_vgpr3
                                        ; implicit-def: $vgpr0_vgpr1
                                        ; implicit-def: $vgpr4
.LBB29_14:
	s_and_not1_saveexec_b32 s2, s2
	s_cbranch_execz .LBB29_19
; %bb.15:
	s_mov_b32 s2, exec_lo
	v_cmpx_lt_i32_e32 0, v4
	s_xor_b32 s2, exec_lo, s2
	s_cbranch_execz .LBB29_17
; %bb.16:
	v_add_co_u32 v2, vcc_lo, s0, v2
	v_add_co_ci_u32_e32 v3, vcc_lo, s1, v3, vcc_lo
	global_load_u16 v2, v[2:3], off
	s_waitcnt vmcnt(0)
	global_store_b16 v[0:1], v2, off
                                        ; implicit-def: $vgpr2_vgpr3
                                        ; implicit-def: $vgpr0_vgpr1
.LBB29_17:
	s_and_not1_saveexec_b32 s2, s2
	s_cbranch_execz .LBB29_19
; %bb.18:
	v_add_co_u32 v2, vcc_lo, s0, v2
	v_add_co_ci_u32_e32 v3, vcc_lo, s1, v3, vcc_lo
	global_load_u16 v2, v[2:3], off
	s_waitcnt vmcnt(0)
	global_store_b16 v[0:1], v2, off
.LBB29_19:
	s_endpgm
	.section	.rodata,"a",@progbits
	.p2align	6, 0x0
	.amdhsa_kernel _Z19thread_store_kernelI12hip_bfloat16EvPT_S2_
		.amdhsa_group_segment_fixed_size 0
		.amdhsa_private_segment_fixed_size 0
		.amdhsa_kernarg_size 272
		.amdhsa_user_sgpr_count 15
		.amdhsa_user_sgpr_dispatch_ptr 0
		.amdhsa_user_sgpr_queue_ptr 0
		.amdhsa_user_sgpr_kernarg_segment_ptr 1
		.amdhsa_user_sgpr_dispatch_id 0
		.amdhsa_user_sgpr_private_segment_size 0
		.amdhsa_wavefront_size32 1
		.amdhsa_uses_dynamic_stack 0
		.amdhsa_enable_private_segment 0
		.amdhsa_system_sgpr_workgroup_id_x 1
		.amdhsa_system_sgpr_workgroup_id_y 0
		.amdhsa_system_sgpr_workgroup_id_z 0
		.amdhsa_system_sgpr_workgroup_info 0
		.amdhsa_system_vgpr_workitem_id 0
		.amdhsa_next_free_vgpr 5
		.amdhsa_next_free_sgpr 16
		.amdhsa_reserve_vcc 1
		.amdhsa_float_round_mode_32 0
		.amdhsa_float_round_mode_16_64 0
		.amdhsa_float_denorm_mode_32 3
		.amdhsa_float_denorm_mode_16_64 3
		.amdhsa_dx10_clamp 1
		.amdhsa_ieee_mode 1
		.amdhsa_fp16_overflow 0
		.amdhsa_workgroup_processor_mode 1
		.amdhsa_memory_ordered 1
		.amdhsa_forward_progress 0
		.amdhsa_shared_vgpr_count 0
		.amdhsa_exception_fp_ieee_invalid_op 0
		.amdhsa_exception_fp_denorm_src 0
		.amdhsa_exception_fp_ieee_div_zero 0
		.amdhsa_exception_fp_ieee_overflow 0
		.amdhsa_exception_fp_ieee_underflow 0
		.amdhsa_exception_fp_ieee_inexact 0
		.amdhsa_exception_int_div_zero 0
	.end_amdhsa_kernel
	.section	.text._Z19thread_store_kernelI12hip_bfloat16EvPT_S2_,"axG",@progbits,_Z19thread_store_kernelI12hip_bfloat16EvPT_S2_,comdat
.Lfunc_end29:
	.size	_Z19thread_store_kernelI12hip_bfloat16EvPT_S2_, .Lfunc_end29-_Z19thread_store_kernelI12hip_bfloat16EvPT_S2_
                                        ; -- End function
	.section	.AMDGPU.csdata,"",@progbits
; Kernel info:
; codeLenInByte = 464
; NumSgprs: 18
; NumVgprs: 5
; ScratchSize: 0
; MemoryBound: 0
; FloatMode: 240
; IeeeMode: 1
; LDSByteSize: 0 bytes/workgroup (compile time only)
; SGPRBlocks: 2
; VGPRBlocks: 0
; NumSGPRsForWavesPerEU: 18
; NumVGPRsForWavesPerEU: 5
; Occupancy: 16
; WaveLimiterHint : 0
; COMPUTE_PGM_RSRC2:SCRATCH_EN: 0
; COMPUTE_PGM_RSRC2:USER_SGPR: 15
; COMPUTE_PGM_RSRC2:TRAP_HANDLER: 0
; COMPUTE_PGM_RSRC2:TGID_X_EN: 1
; COMPUTE_PGM_RSRC2:TGID_Y_EN: 0
; COMPUTE_PGM_RSRC2:TGID_Z_EN: 0
; COMPUTE_PGM_RSRC2:TIDIG_COMP_CNT: 0
	.section	.text._Z19thread_store_kernelI6__halfEvPT_S2_,"axG",@progbits,_Z19thread_store_kernelI6__halfEvPT_S2_,comdat
	.protected	_Z19thread_store_kernelI6__halfEvPT_S2_ ; -- Begin function _Z19thread_store_kernelI6__halfEvPT_S2_
	.globl	_Z19thread_store_kernelI6__halfEvPT_S2_
	.p2align	8
	.type	_Z19thread_store_kernelI6__halfEvPT_S2_,@function
_Z19thread_store_kernelI6__halfEvPT_S2_: ; @_Z19thread_store_kernelI6__halfEvPT_S2_
; %bb.0:
	s_load_b32 s2, s[0:1], 0x1c
	s_waitcnt lgkmcnt(0)
	s_and_b32 s2, s2, 0xffff
	s_delay_alu instid0(SALU_CYCLE_1) | instskip(SKIP_1) | instid1(VALU_DEP_1)
	v_mad_u64_u32 v[1:2], null, s15, s2, v[0:1]
	s_load_b128 s[0:3], s[0:1], 0x0
	v_mul_hi_u32 v0, 0x24924925, v1
	s_delay_alu instid0(VALU_DEP_1) | instskip(NEXT) | instid1(VALU_DEP_1)
	v_sub_nc_u32_e32 v2, v1, v0
	v_lshrrev_b32_e32 v2, 1, v2
	s_delay_alu instid0(VALU_DEP_1) | instskip(SKIP_1) | instid1(VALU_DEP_2)
	v_add_nc_u32_e32 v0, v2, v0
	v_mov_b32_e32 v2, 0
	v_lshrrev_b32_e32 v0, 2, v0
	s_delay_alu instid0(VALU_DEP_2) | instskip(NEXT) | instid1(VALU_DEP_2)
	v_lshlrev_b64 v[2:3], 1, v[1:2]
	v_mul_lo_u32 v0, v0, 7
	s_delay_alu instid0(VALU_DEP_1) | instskip(SKIP_1) | instid1(VALU_DEP_3)
	v_sub_nc_u32_e32 v4, v1, v0
	s_waitcnt lgkmcnt(0)
	v_add_co_u32 v0, vcc_lo, s2, v2
	s_delay_alu instid0(VALU_DEP_4)
	v_add_co_ci_u32_e32 v1, vcc_lo, s3, v3, vcc_lo
	s_mov_b32 s2, exec_lo
	v_cmpx_lt_i32_e32 1, v4
	s_xor_b32 s2, exec_lo, s2
	s_cbranch_execz .LBB30_14
; %bb.1:
	s_mov_b32 s3, exec_lo
	v_cmpx_lt_i32_e32 2, v4
	s_xor_b32 s3, exec_lo, s3
	s_cbranch_execz .LBB30_11
; %bb.2:
	;; [unrolled: 5-line block ×3, first 2 shown]
	s_mov_b32 s5, exec_lo
	v_cmpx_ne_u32_e32 4, v4
	s_xor_b32 s5, exec_lo, s5
	s_cbranch_execz .LBB30_5
; %bb.4:
	v_add_co_u32 v2, vcc_lo, s0, v2
	v_add_co_ci_u32_e32 v3, vcc_lo, s1, v3, vcc_lo
	global_load_u16 v2, v[2:3], off
	s_waitcnt vmcnt(0)
	flat_store_b16 v[0:1], v2 dlc
	s_waitcnt_vscnt null, 0x0
                                        ; implicit-def: $vgpr2_vgpr3
                                        ; implicit-def: $vgpr0_vgpr1
.LBB30_5:
	s_and_not1_saveexec_b32 s5, s5
	s_cbranch_execz .LBB30_7
; %bb.6:
	v_add_co_u32 v2, vcc_lo, s0, v2
	v_add_co_ci_u32_e32 v3, vcc_lo, s1, v3, vcc_lo
	global_load_u16 v2, v[2:3], off
	s_waitcnt vmcnt(0)
	flat_store_b16 v[0:1], v2 dlc
	s_waitcnt_vscnt null, 0x0
.LBB30_7:
	s_or_b32 exec_lo, exec_lo, s5
                                        ; implicit-def: $vgpr2_vgpr3
                                        ; implicit-def: $vgpr0_vgpr1
.LBB30_8:
	s_and_not1_saveexec_b32 s4, s4
	s_cbranch_execz .LBB30_10
; %bb.9:
	v_add_co_u32 v2, vcc_lo, s0, v2
	v_add_co_ci_u32_e32 v3, vcc_lo, s1, v3, vcc_lo
	global_load_u16 v2, v[2:3], off
	s_waitcnt vmcnt(0)
	global_store_b16 v[0:1], v2, off glc slc dlc
.LBB30_10:
	s_or_b32 exec_lo, exec_lo, s4
                                        ; implicit-def: $vgpr2_vgpr3
                                        ; implicit-def: $vgpr0_vgpr1
.LBB30_11:
	s_and_not1_saveexec_b32 s3, s3
	s_cbranch_execz .LBB30_13
; %bb.12:
	v_add_co_u32 v2, vcc_lo, s0, v2
	v_add_co_ci_u32_e32 v3, vcc_lo, s1, v3, vcc_lo
	global_load_u16 v2, v[2:3], off
	s_waitcnt vmcnt(0)
	global_store_b16 v[0:1], v2, off
.LBB30_13:
	s_or_b32 exec_lo, exec_lo, s3
                                        ; implicit-def: $vgpr2_vgpr3
                                        ; implicit-def: $vgpr0_vgpr1
                                        ; implicit-def: $vgpr4
.LBB30_14:
	s_and_not1_saveexec_b32 s2, s2
	s_cbranch_execz .LBB30_19
; %bb.15:
	s_mov_b32 s2, exec_lo
	v_cmpx_lt_i32_e32 0, v4
	s_xor_b32 s2, exec_lo, s2
	s_cbranch_execz .LBB30_17
; %bb.16:
	v_add_co_u32 v2, vcc_lo, s0, v2
	v_add_co_ci_u32_e32 v3, vcc_lo, s1, v3, vcc_lo
	global_load_u16 v2, v[2:3], off
	s_waitcnt vmcnt(0)
	global_store_b16 v[0:1], v2, off
                                        ; implicit-def: $vgpr2_vgpr3
                                        ; implicit-def: $vgpr0_vgpr1
.LBB30_17:
	s_and_not1_saveexec_b32 s2, s2
	s_cbranch_execz .LBB30_19
; %bb.18:
	v_add_co_u32 v2, vcc_lo, s0, v2
	v_add_co_ci_u32_e32 v3, vcc_lo, s1, v3, vcc_lo
	global_load_u16 v2, v[2:3], off
	s_waitcnt vmcnt(0)
	global_store_b16 v[0:1], v2, off
.LBB30_19:
	s_endpgm
	.section	.rodata,"a",@progbits
	.p2align	6, 0x0
	.amdhsa_kernel _Z19thread_store_kernelI6__halfEvPT_S2_
		.amdhsa_group_segment_fixed_size 0
		.amdhsa_private_segment_fixed_size 0
		.amdhsa_kernarg_size 272
		.amdhsa_user_sgpr_count 15
		.amdhsa_user_sgpr_dispatch_ptr 0
		.amdhsa_user_sgpr_queue_ptr 0
		.amdhsa_user_sgpr_kernarg_segment_ptr 1
		.amdhsa_user_sgpr_dispatch_id 0
		.amdhsa_user_sgpr_private_segment_size 0
		.amdhsa_wavefront_size32 1
		.amdhsa_uses_dynamic_stack 0
		.amdhsa_enable_private_segment 0
		.amdhsa_system_sgpr_workgroup_id_x 1
		.amdhsa_system_sgpr_workgroup_id_y 0
		.amdhsa_system_sgpr_workgroup_id_z 0
		.amdhsa_system_sgpr_workgroup_info 0
		.amdhsa_system_vgpr_workitem_id 0
		.amdhsa_next_free_vgpr 5
		.amdhsa_next_free_sgpr 16
		.amdhsa_reserve_vcc 1
		.amdhsa_float_round_mode_32 0
		.amdhsa_float_round_mode_16_64 0
		.amdhsa_float_denorm_mode_32 3
		.amdhsa_float_denorm_mode_16_64 3
		.amdhsa_dx10_clamp 1
		.amdhsa_ieee_mode 1
		.amdhsa_fp16_overflow 0
		.amdhsa_workgroup_processor_mode 1
		.amdhsa_memory_ordered 1
		.amdhsa_forward_progress 0
		.amdhsa_shared_vgpr_count 0
		.amdhsa_exception_fp_ieee_invalid_op 0
		.amdhsa_exception_fp_denorm_src 0
		.amdhsa_exception_fp_ieee_div_zero 0
		.amdhsa_exception_fp_ieee_overflow 0
		.amdhsa_exception_fp_ieee_underflow 0
		.amdhsa_exception_fp_ieee_inexact 0
		.amdhsa_exception_int_div_zero 0
	.end_amdhsa_kernel
	.section	.text._Z19thread_store_kernelI6__halfEvPT_S2_,"axG",@progbits,_Z19thread_store_kernelI6__halfEvPT_S2_,comdat
.Lfunc_end30:
	.size	_Z19thread_store_kernelI6__halfEvPT_S2_, .Lfunc_end30-_Z19thread_store_kernelI6__halfEvPT_S2_
                                        ; -- End function
	.section	.AMDGPU.csdata,"",@progbits
; Kernel info:
; codeLenInByte = 464
; NumSgprs: 18
; NumVgprs: 5
; ScratchSize: 0
; MemoryBound: 0
; FloatMode: 240
; IeeeMode: 1
; LDSByteSize: 0 bytes/workgroup (compile time only)
; SGPRBlocks: 2
; VGPRBlocks: 0
; NumSGPRsForWavesPerEU: 18
; NumVGPRsForWavesPerEU: 5
; Occupancy: 16
; WaveLimiterHint : 0
; COMPUTE_PGM_RSRC2:SCRATCH_EN: 0
; COMPUTE_PGM_RSRC2:USER_SGPR: 15
; COMPUTE_PGM_RSRC2:TRAP_HANDLER: 0
; COMPUTE_PGM_RSRC2:TGID_X_EN: 1
; COMPUTE_PGM_RSRC2:TGID_Y_EN: 0
; COMPUTE_PGM_RSRC2:TGID_Z_EN: 0
; COMPUTE_PGM_RSRC2:TIDIG_COMP_CNT: 0
	.section	.text._Z19thread_store_kernelIiEvPT_S1_,"axG",@progbits,_Z19thread_store_kernelIiEvPT_S1_,comdat
	.protected	_Z19thread_store_kernelIiEvPT_S1_ ; -- Begin function _Z19thread_store_kernelIiEvPT_S1_
	.globl	_Z19thread_store_kernelIiEvPT_S1_
	.p2align	8
	.type	_Z19thread_store_kernelIiEvPT_S1_,@function
_Z19thread_store_kernelIiEvPT_S1_:      ; @_Z19thread_store_kernelIiEvPT_S1_
; %bb.0:
	s_load_b32 s2, s[0:1], 0x1c
	s_waitcnt lgkmcnt(0)
	s_and_b32 s2, s2, 0xffff
	s_delay_alu instid0(SALU_CYCLE_1) | instskip(SKIP_1) | instid1(VALU_DEP_1)
	v_mad_u64_u32 v[1:2], null, s15, s2, v[0:1]
	s_load_b128 s[0:3], s[0:1], 0x0
	v_mul_hi_u32 v0, 0x24924925, v1
	s_delay_alu instid0(VALU_DEP_1) | instskip(NEXT) | instid1(VALU_DEP_1)
	v_sub_nc_u32_e32 v2, v1, v0
	v_lshrrev_b32_e32 v2, 1, v2
	s_delay_alu instid0(VALU_DEP_1) | instskip(SKIP_1) | instid1(VALU_DEP_2)
	v_add_nc_u32_e32 v0, v2, v0
	v_mov_b32_e32 v2, 0
	v_lshrrev_b32_e32 v0, 2, v0
	s_delay_alu instid0(VALU_DEP_2) | instskip(NEXT) | instid1(VALU_DEP_2)
	v_lshlrev_b64 v[2:3], 2, v[1:2]
	v_mul_lo_u32 v0, v0, 7
	s_delay_alu instid0(VALU_DEP_1) | instskip(SKIP_1) | instid1(VALU_DEP_3)
	v_sub_nc_u32_e32 v4, v1, v0
	s_waitcnt lgkmcnt(0)
	v_add_co_u32 v0, vcc_lo, s2, v2
	s_delay_alu instid0(VALU_DEP_4)
	v_add_co_ci_u32_e32 v1, vcc_lo, s3, v3, vcc_lo
	s_mov_b32 s2, exec_lo
	v_cmpx_lt_i32_e32 1, v4
	s_xor_b32 s2, exec_lo, s2
	s_cbranch_execz .LBB31_14
; %bb.1:
	s_mov_b32 s3, exec_lo
	v_cmpx_lt_i32_e32 2, v4
	s_xor_b32 s3, exec_lo, s3
	s_cbranch_execz .LBB31_11
; %bb.2:
	;; [unrolled: 5-line block ×3, first 2 shown]
	s_mov_b32 s5, exec_lo
	v_cmpx_ne_u32_e32 4, v4
	s_xor_b32 s5, exec_lo, s5
	s_cbranch_execz .LBB31_5
; %bb.4:
	v_add_co_u32 v2, vcc_lo, s0, v2
	v_add_co_ci_u32_e32 v3, vcc_lo, s1, v3, vcc_lo
	global_load_b32 v2, v[2:3], off
	s_waitcnt vmcnt(0)
	flat_store_b32 v[0:1], v2 dlc
	s_waitcnt_vscnt null, 0x0
                                        ; implicit-def: $vgpr2_vgpr3
                                        ; implicit-def: $vgpr0_vgpr1
.LBB31_5:
	s_and_not1_saveexec_b32 s5, s5
	s_cbranch_execz .LBB31_7
; %bb.6:
	v_add_co_u32 v2, vcc_lo, s0, v2
	v_add_co_ci_u32_e32 v3, vcc_lo, s1, v3, vcc_lo
	global_load_b32 v2, v[2:3], off
	s_waitcnt vmcnt(0)
	flat_store_b32 v[0:1], v2 dlc
	s_waitcnt_vscnt null, 0x0
.LBB31_7:
	s_or_b32 exec_lo, exec_lo, s5
                                        ; implicit-def: $vgpr2_vgpr3
                                        ; implicit-def: $vgpr0_vgpr1
.LBB31_8:
	s_and_not1_saveexec_b32 s4, s4
	s_cbranch_execz .LBB31_10
; %bb.9:
	v_add_co_u32 v2, vcc_lo, s0, v2
	v_add_co_ci_u32_e32 v3, vcc_lo, s1, v3, vcc_lo
	global_load_b32 v2, v[2:3], off
	s_waitcnt vmcnt(0)
	global_store_b32 v[0:1], v2, off glc slc dlc
.LBB31_10:
	s_or_b32 exec_lo, exec_lo, s4
                                        ; implicit-def: $vgpr2_vgpr3
                                        ; implicit-def: $vgpr0_vgpr1
.LBB31_11:
	s_and_not1_saveexec_b32 s3, s3
	s_cbranch_execz .LBB31_13
; %bb.12:
	v_add_co_u32 v2, vcc_lo, s0, v2
	v_add_co_ci_u32_e32 v3, vcc_lo, s1, v3, vcc_lo
	global_load_b32 v2, v[2:3], off
	s_waitcnt vmcnt(0)
	global_store_b32 v[0:1], v2, off
.LBB31_13:
	s_or_b32 exec_lo, exec_lo, s3
                                        ; implicit-def: $vgpr2_vgpr3
                                        ; implicit-def: $vgpr0_vgpr1
                                        ; implicit-def: $vgpr4
.LBB31_14:
	s_and_not1_saveexec_b32 s2, s2
	s_cbranch_execz .LBB31_19
; %bb.15:
	s_mov_b32 s2, exec_lo
	v_cmpx_lt_i32_e32 0, v4
	s_xor_b32 s2, exec_lo, s2
	s_cbranch_execz .LBB31_17
; %bb.16:
	v_add_co_u32 v2, vcc_lo, s0, v2
	v_add_co_ci_u32_e32 v3, vcc_lo, s1, v3, vcc_lo
	global_load_b32 v2, v[2:3], off
	s_waitcnt vmcnt(0)
	global_store_b32 v[0:1], v2, off
                                        ; implicit-def: $vgpr2_vgpr3
                                        ; implicit-def: $vgpr0_vgpr1
.LBB31_17:
	s_and_not1_saveexec_b32 s2, s2
	s_cbranch_execz .LBB31_19
; %bb.18:
	v_add_co_u32 v2, vcc_lo, s0, v2
	v_add_co_ci_u32_e32 v3, vcc_lo, s1, v3, vcc_lo
	global_load_b32 v2, v[2:3], off
	s_waitcnt vmcnt(0)
	global_store_b32 v[0:1], v2, off
.LBB31_19:
	s_endpgm
	.section	.rodata,"a",@progbits
	.p2align	6, 0x0
	.amdhsa_kernel _Z19thread_store_kernelIiEvPT_S1_
		.amdhsa_group_segment_fixed_size 0
		.amdhsa_private_segment_fixed_size 0
		.amdhsa_kernarg_size 272
		.amdhsa_user_sgpr_count 15
		.amdhsa_user_sgpr_dispatch_ptr 0
		.amdhsa_user_sgpr_queue_ptr 0
		.amdhsa_user_sgpr_kernarg_segment_ptr 1
		.amdhsa_user_sgpr_dispatch_id 0
		.amdhsa_user_sgpr_private_segment_size 0
		.amdhsa_wavefront_size32 1
		.amdhsa_uses_dynamic_stack 0
		.amdhsa_enable_private_segment 0
		.amdhsa_system_sgpr_workgroup_id_x 1
		.amdhsa_system_sgpr_workgroup_id_y 0
		.amdhsa_system_sgpr_workgroup_id_z 0
		.amdhsa_system_sgpr_workgroup_info 0
		.amdhsa_system_vgpr_workitem_id 0
		.amdhsa_next_free_vgpr 5
		.amdhsa_next_free_sgpr 16
		.amdhsa_reserve_vcc 1
		.amdhsa_float_round_mode_32 0
		.amdhsa_float_round_mode_16_64 0
		.amdhsa_float_denorm_mode_32 3
		.amdhsa_float_denorm_mode_16_64 3
		.amdhsa_dx10_clamp 1
		.amdhsa_ieee_mode 1
		.amdhsa_fp16_overflow 0
		.amdhsa_workgroup_processor_mode 1
		.amdhsa_memory_ordered 1
		.amdhsa_forward_progress 0
		.amdhsa_shared_vgpr_count 0
		.amdhsa_exception_fp_ieee_invalid_op 0
		.amdhsa_exception_fp_denorm_src 0
		.amdhsa_exception_fp_ieee_div_zero 0
		.amdhsa_exception_fp_ieee_overflow 0
		.amdhsa_exception_fp_ieee_underflow 0
		.amdhsa_exception_fp_ieee_inexact 0
		.amdhsa_exception_int_div_zero 0
	.end_amdhsa_kernel
	.section	.text._Z19thread_store_kernelIiEvPT_S1_,"axG",@progbits,_Z19thread_store_kernelIiEvPT_S1_,comdat
.Lfunc_end31:
	.size	_Z19thread_store_kernelIiEvPT_S1_, .Lfunc_end31-_Z19thread_store_kernelIiEvPT_S1_
                                        ; -- End function
	.section	.AMDGPU.csdata,"",@progbits
; Kernel info:
; codeLenInByte = 464
; NumSgprs: 18
; NumVgprs: 5
; ScratchSize: 0
; MemoryBound: 0
; FloatMode: 240
; IeeeMode: 1
; LDSByteSize: 0 bytes/workgroup (compile time only)
; SGPRBlocks: 2
; VGPRBlocks: 0
; NumSGPRsForWavesPerEU: 18
; NumVGPRsForWavesPerEU: 5
; Occupancy: 16
; WaveLimiterHint : 0
; COMPUTE_PGM_RSRC2:SCRATCH_EN: 0
; COMPUTE_PGM_RSRC2:USER_SGPR: 15
; COMPUTE_PGM_RSRC2:TRAP_HANDLER: 0
; COMPUTE_PGM_RSRC2:TGID_X_EN: 1
; COMPUTE_PGM_RSRC2:TGID_Y_EN: 0
; COMPUTE_PGM_RSRC2:TGID_Z_EN: 0
; COMPUTE_PGM_RSRC2:TIDIG_COMP_CNT: 0
	.section	.text._Z19thread_store_kernelImEvPT_S1_,"axG",@progbits,_Z19thread_store_kernelImEvPT_S1_,comdat
	.protected	_Z19thread_store_kernelImEvPT_S1_ ; -- Begin function _Z19thread_store_kernelImEvPT_S1_
	.globl	_Z19thread_store_kernelImEvPT_S1_
	.p2align	8
	.type	_Z19thread_store_kernelImEvPT_S1_,@function
_Z19thread_store_kernelImEvPT_S1_:      ; @_Z19thread_store_kernelImEvPT_S1_
; %bb.0:
	s_load_b32 s2, s[0:1], 0x1c
	s_waitcnt lgkmcnt(0)
	s_and_b32 s2, s2, 0xffff
	s_delay_alu instid0(SALU_CYCLE_1) | instskip(SKIP_1) | instid1(VALU_DEP_1)
	v_mad_u64_u32 v[1:2], null, s15, s2, v[0:1]
	s_load_b128 s[0:3], s[0:1], 0x0
	v_mul_hi_u32 v0, 0x24924925, v1
	s_delay_alu instid0(VALU_DEP_1) | instskip(NEXT) | instid1(VALU_DEP_1)
	v_sub_nc_u32_e32 v2, v1, v0
	v_lshrrev_b32_e32 v2, 1, v2
	s_delay_alu instid0(VALU_DEP_1) | instskip(SKIP_1) | instid1(VALU_DEP_2)
	v_add_nc_u32_e32 v0, v2, v0
	v_mov_b32_e32 v2, 0
	v_lshrrev_b32_e32 v0, 2, v0
	s_delay_alu instid0(VALU_DEP_2) | instskip(NEXT) | instid1(VALU_DEP_2)
	v_lshlrev_b64 v[2:3], 3, v[1:2]
	v_mul_lo_u32 v0, v0, 7
	s_delay_alu instid0(VALU_DEP_1) | instskip(SKIP_1) | instid1(VALU_DEP_3)
	v_sub_nc_u32_e32 v4, v1, v0
	s_waitcnt lgkmcnt(0)
	v_add_co_u32 v0, vcc_lo, s2, v2
	s_delay_alu instid0(VALU_DEP_4)
	v_add_co_ci_u32_e32 v1, vcc_lo, s3, v3, vcc_lo
	s_mov_b32 s2, exec_lo
	v_cmpx_lt_i32_e32 1, v4
	s_xor_b32 s2, exec_lo, s2
	s_cbranch_execz .LBB32_14
; %bb.1:
	s_mov_b32 s3, exec_lo
	v_cmpx_lt_i32_e32 2, v4
	s_xor_b32 s3, exec_lo, s3
	s_cbranch_execz .LBB32_11
; %bb.2:
	;; [unrolled: 5-line block ×3, first 2 shown]
	s_mov_b32 s5, exec_lo
	v_cmpx_ne_u32_e32 4, v4
	s_xor_b32 s5, exec_lo, s5
	s_cbranch_execz .LBB32_5
; %bb.4:
	v_add_co_u32 v2, vcc_lo, s0, v2
	v_add_co_ci_u32_e32 v3, vcc_lo, s1, v3, vcc_lo
	global_load_b64 v[2:3], v[2:3], off
	s_waitcnt vmcnt(0)
	flat_store_b64 v[0:1], v[2:3] dlc
	s_waitcnt_vscnt null, 0x0
                                        ; implicit-def: $vgpr2_vgpr3
                                        ; implicit-def: $vgpr0_vgpr1
.LBB32_5:
	s_and_not1_saveexec_b32 s5, s5
	s_cbranch_execz .LBB32_7
; %bb.6:
	v_add_co_u32 v2, vcc_lo, s0, v2
	v_add_co_ci_u32_e32 v3, vcc_lo, s1, v3, vcc_lo
	global_load_b64 v[2:3], v[2:3], off
	s_waitcnt vmcnt(0)
	flat_store_b64 v[0:1], v[2:3] dlc
	s_waitcnt_vscnt null, 0x0
.LBB32_7:
	s_or_b32 exec_lo, exec_lo, s5
                                        ; implicit-def: $vgpr2_vgpr3
                                        ; implicit-def: $vgpr0_vgpr1
.LBB32_8:
	s_and_not1_saveexec_b32 s4, s4
	s_cbranch_execz .LBB32_10
; %bb.9:
	v_add_co_u32 v2, vcc_lo, s0, v2
	v_add_co_ci_u32_e32 v3, vcc_lo, s1, v3, vcc_lo
	global_load_b64 v[2:3], v[2:3], off
	s_waitcnt vmcnt(0)
	global_store_b64 v[0:1], v[2:3], off glc slc dlc
.LBB32_10:
	s_or_b32 exec_lo, exec_lo, s4
                                        ; implicit-def: $vgpr2_vgpr3
                                        ; implicit-def: $vgpr0_vgpr1
.LBB32_11:
	s_and_not1_saveexec_b32 s3, s3
	s_cbranch_execz .LBB32_13
; %bb.12:
	v_add_co_u32 v2, vcc_lo, s0, v2
	v_add_co_ci_u32_e32 v3, vcc_lo, s1, v3, vcc_lo
	global_load_b64 v[2:3], v[2:3], off
	s_waitcnt vmcnt(0)
	global_store_b64 v[0:1], v[2:3], off
.LBB32_13:
	s_or_b32 exec_lo, exec_lo, s3
                                        ; implicit-def: $vgpr2_vgpr3
                                        ; implicit-def: $vgpr0_vgpr1
                                        ; implicit-def: $vgpr4
.LBB32_14:
	s_and_not1_saveexec_b32 s2, s2
	s_cbranch_execz .LBB32_19
; %bb.15:
	s_mov_b32 s2, exec_lo
	v_cmpx_lt_i32_e32 0, v4
	s_xor_b32 s2, exec_lo, s2
	s_cbranch_execz .LBB32_17
; %bb.16:
	v_add_co_u32 v2, vcc_lo, s0, v2
	v_add_co_ci_u32_e32 v3, vcc_lo, s1, v3, vcc_lo
	global_load_b64 v[2:3], v[2:3], off
	s_waitcnt vmcnt(0)
	global_store_b64 v[0:1], v[2:3], off
                                        ; implicit-def: $vgpr2_vgpr3
                                        ; implicit-def: $vgpr0_vgpr1
.LBB32_17:
	s_and_not1_saveexec_b32 s2, s2
	s_cbranch_execz .LBB32_19
; %bb.18:
	v_add_co_u32 v2, vcc_lo, s0, v2
	v_add_co_ci_u32_e32 v3, vcc_lo, s1, v3, vcc_lo
	global_load_b64 v[2:3], v[2:3], off
	s_waitcnt vmcnt(0)
	global_store_b64 v[0:1], v[2:3], off
.LBB32_19:
	s_endpgm
	.section	.rodata,"a",@progbits
	.p2align	6, 0x0
	.amdhsa_kernel _Z19thread_store_kernelImEvPT_S1_
		.amdhsa_group_segment_fixed_size 0
		.amdhsa_private_segment_fixed_size 0
		.amdhsa_kernarg_size 272
		.amdhsa_user_sgpr_count 15
		.amdhsa_user_sgpr_dispatch_ptr 0
		.amdhsa_user_sgpr_queue_ptr 0
		.amdhsa_user_sgpr_kernarg_segment_ptr 1
		.amdhsa_user_sgpr_dispatch_id 0
		.amdhsa_user_sgpr_private_segment_size 0
		.amdhsa_wavefront_size32 1
		.amdhsa_uses_dynamic_stack 0
		.amdhsa_enable_private_segment 0
		.amdhsa_system_sgpr_workgroup_id_x 1
		.amdhsa_system_sgpr_workgroup_id_y 0
		.amdhsa_system_sgpr_workgroup_id_z 0
		.amdhsa_system_sgpr_workgroup_info 0
		.amdhsa_system_vgpr_workitem_id 0
		.amdhsa_next_free_vgpr 5
		.amdhsa_next_free_sgpr 16
		.amdhsa_reserve_vcc 1
		.amdhsa_float_round_mode_32 0
		.amdhsa_float_round_mode_16_64 0
		.amdhsa_float_denorm_mode_32 3
		.amdhsa_float_denorm_mode_16_64 3
		.amdhsa_dx10_clamp 1
		.amdhsa_ieee_mode 1
		.amdhsa_fp16_overflow 0
		.amdhsa_workgroup_processor_mode 1
		.amdhsa_memory_ordered 1
		.amdhsa_forward_progress 0
		.amdhsa_shared_vgpr_count 0
		.amdhsa_exception_fp_ieee_invalid_op 0
		.amdhsa_exception_fp_denorm_src 0
		.amdhsa_exception_fp_ieee_div_zero 0
		.amdhsa_exception_fp_ieee_overflow 0
		.amdhsa_exception_fp_ieee_underflow 0
		.amdhsa_exception_fp_ieee_inexact 0
		.amdhsa_exception_int_div_zero 0
	.end_amdhsa_kernel
	.section	.text._Z19thread_store_kernelImEvPT_S1_,"axG",@progbits,_Z19thread_store_kernelImEvPT_S1_,comdat
.Lfunc_end32:
	.size	_Z19thread_store_kernelImEvPT_S1_, .Lfunc_end32-_Z19thread_store_kernelImEvPT_S1_
                                        ; -- End function
	.section	.AMDGPU.csdata,"",@progbits
; Kernel info:
; codeLenInByte = 464
; NumSgprs: 18
; NumVgprs: 5
; ScratchSize: 0
; MemoryBound: 0
; FloatMode: 240
; IeeeMode: 1
; LDSByteSize: 0 bytes/workgroup (compile time only)
; SGPRBlocks: 2
; VGPRBlocks: 0
; NumSGPRsForWavesPerEU: 18
; NumVGPRsForWavesPerEU: 5
; Occupancy: 16
; WaveLimiterHint : 0
; COMPUTE_PGM_RSRC2:SCRATCH_EN: 0
; COMPUTE_PGM_RSRC2:USER_SGPR: 15
; COMPUTE_PGM_RSRC2:TRAP_HANDLER: 0
; COMPUTE_PGM_RSRC2:TGID_X_EN: 1
; COMPUTE_PGM_RSRC2:TGID_Y_EN: 0
; COMPUTE_PGM_RSRC2:TGID_Z_EN: 0
; COMPUTE_PGM_RSRC2:TIDIG_COMP_CNT: 0
	.section	.text._Z19thread_store_kernelIjEvPT_S1_,"axG",@progbits,_Z19thread_store_kernelIjEvPT_S1_,comdat
	.protected	_Z19thread_store_kernelIjEvPT_S1_ ; -- Begin function _Z19thread_store_kernelIjEvPT_S1_
	.globl	_Z19thread_store_kernelIjEvPT_S1_
	.p2align	8
	.type	_Z19thread_store_kernelIjEvPT_S1_,@function
_Z19thread_store_kernelIjEvPT_S1_:      ; @_Z19thread_store_kernelIjEvPT_S1_
; %bb.0:
	s_load_b32 s2, s[0:1], 0x1c
	s_waitcnt lgkmcnt(0)
	s_and_b32 s2, s2, 0xffff
	s_delay_alu instid0(SALU_CYCLE_1) | instskip(SKIP_1) | instid1(VALU_DEP_1)
	v_mad_u64_u32 v[1:2], null, s15, s2, v[0:1]
	s_load_b128 s[0:3], s[0:1], 0x0
	v_mul_hi_u32 v0, 0x24924925, v1
	s_delay_alu instid0(VALU_DEP_1) | instskip(NEXT) | instid1(VALU_DEP_1)
	v_sub_nc_u32_e32 v2, v1, v0
	v_lshrrev_b32_e32 v2, 1, v2
	s_delay_alu instid0(VALU_DEP_1) | instskip(SKIP_1) | instid1(VALU_DEP_2)
	v_add_nc_u32_e32 v0, v2, v0
	v_mov_b32_e32 v2, 0
	v_lshrrev_b32_e32 v0, 2, v0
	s_delay_alu instid0(VALU_DEP_2) | instskip(NEXT) | instid1(VALU_DEP_2)
	v_lshlrev_b64 v[2:3], 2, v[1:2]
	v_mul_lo_u32 v0, v0, 7
	s_delay_alu instid0(VALU_DEP_1) | instskip(SKIP_1) | instid1(VALU_DEP_3)
	v_sub_nc_u32_e32 v4, v1, v0
	s_waitcnt lgkmcnt(0)
	v_add_co_u32 v0, vcc_lo, s2, v2
	s_delay_alu instid0(VALU_DEP_4)
	v_add_co_ci_u32_e32 v1, vcc_lo, s3, v3, vcc_lo
	s_mov_b32 s2, exec_lo
	v_cmpx_lt_i32_e32 1, v4
	s_xor_b32 s2, exec_lo, s2
	s_cbranch_execz .LBB33_14
; %bb.1:
	s_mov_b32 s3, exec_lo
	v_cmpx_lt_i32_e32 2, v4
	s_xor_b32 s3, exec_lo, s3
	s_cbranch_execz .LBB33_11
; %bb.2:
	;; [unrolled: 5-line block ×3, first 2 shown]
	s_mov_b32 s5, exec_lo
	v_cmpx_ne_u32_e32 4, v4
	s_xor_b32 s5, exec_lo, s5
	s_cbranch_execz .LBB33_5
; %bb.4:
	v_add_co_u32 v2, vcc_lo, s0, v2
	v_add_co_ci_u32_e32 v3, vcc_lo, s1, v3, vcc_lo
	global_load_b32 v2, v[2:3], off
	s_waitcnt vmcnt(0)
	flat_store_b32 v[0:1], v2 dlc
	s_waitcnt_vscnt null, 0x0
                                        ; implicit-def: $vgpr2_vgpr3
                                        ; implicit-def: $vgpr0_vgpr1
.LBB33_5:
	s_and_not1_saveexec_b32 s5, s5
	s_cbranch_execz .LBB33_7
; %bb.6:
	v_add_co_u32 v2, vcc_lo, s0, v2
	v_add_co_ci_u32_e32 v3, vcc_lo, s1, v3, vcc_lo
	global_load_b32 v2, v[2:3], off
	s_waitcnt vmcnt(0)
	flat_store_b32 v[0:1], v2 dlc
	s_waitcnt_vscnt null, 0x0
.LBB33_7:
	s_or_b32 exec_lo, exec_lo, s5
                                        ; implicit-def: $vgpr2_vgpr3
                                        ; implicit-def: $vgpr0_vgpr1
.LBB33_8:
	s_and_not1_saveexec_b32 s4, s4
	s_cbranch_execz .LBB33_10
; %bb.9:
	v_add_co_u32 v2, vcc_lo, s0, v2
	v_add_co_ci_u32_e32 v3, vcc_lo, s1, v3, vcc_lo
	global_load_b32 v2, v[2:3], off
	s_waitcnt vmcnt(0)
	global_store_b32 v[0:1], v2, off glc slc dlc
.LBB33_10:
	s_or_b32 exec_lo, exec_lo, s4
                                        ; implicit-def: $vgpr2_vgpr3
                                        ; implicit-def: $vgpr0_vgpr1
.LBB33_11:
	s_and_not1_saveexec_b32 s3, s3
	s_cbranch_execz .LBB33_13
; %bb.12:
	v_add_co_u32 v2, vcc_lo, s0, v2
	v_add_co_ci_u32_e32 v3, vcc_lo, s1, v3, vcc_lo
	global_load_b32 v2, v[2:3], off
	s_waitcnt vmcnt(0)
	global_store_b32 v[0:1], v2, off
.LBB33_13:
	s_or_b32 exec_lo, exec_lo, s3
                                        ; implicit-def: $vgpr2_vgpr3
                                        ; implicit-def: $vgpr0_vgpr1
                                        ; implicit-def: $vgpr4
.LBB33_14:
	s_and_not1_saveexec_b32 s2, s2
	s_cbranch_execz .LBB33_19
; %bb.15:
	s_mov_b32 s2, exec_lo
	v_cmpx_lt_i32_e32 0, v4
	s_xor_b32 s2, exec_lo, s2
	s_cbranch_execz .LBB33_17
; %bb.16:
	v_add_co_u32 v2, vcc_lo, s0, v2
	v_add_co_ci_u32_e32 v3, vcc_lo, s1, v3, vcc_lo
	global_load_b32 v2, v[2:3], off
	s_waitcnt vmcnt(0)
	global_store_b32 v[0:1], v2, off
                                        ; implicit-def: $vgpr2_vgpr3
                                        ; implicit-def: $vgpr0_vgpr1
.LBB33_17:
	s_and_not1_saveexec_b32 s2, s2
	s_cbranch_execz .LBB33_19
; %bb.18:
	v_add_co_u32 v2, vcc_lo, s0, v2
	v_add_co_ci_u32_e32 v3, vcc_lo, s1, v3, vcc_lo
	global_load_b32 v2, v[2:3], off
	s_waitcnt vmcnt(0)
	global_store_b32 v[0:1], v2, off
.LBB33_19:
	s_endpgm
	.section	.rodata,"a",@progbits
	.p2align	6, 0x0
	.amdhsa_kernel _Z19thread_store_kernelIjEvPT_S1_
		.amdhsa_group_segment_fixed_size 0
		.amdhsa_private_segment_fixed_size 0
		.amdhsa_kernarg_size 272
		.amdhsa_user_sgpr_count 15
		.amdhsa_user_sgpr_dispatch_ptr 0
		.amdhsa_user_sgpr_queue_ptr 0
		.amdhsa_user_sgpr_kernarg_segment_ptr 1
		.amdhsa_user_sgpr_dispatch_id 0
		.amdhsa_user_sgpr_private_segment_size 0
		.amdhsa_wavefront_size32 1
		.amdhsa_uses_dynamic_stack 0
		.amdhsa_enable_private_segment 0
		.amdhsa_system_sgpr_workgroup_id_x 1
		.amdhsa_system_sgpr_workgroup_id_y 0
		.amdhsa_system_sgpr_workgroup_id_z 0
		.amdhsa_system_sgpr_workgroup_info 0
		.amdhsa_system_vgpr_workitem_id 0
		.amdhsa_next_free_vgpr 5
		.amdhsa_next_free_sgpr 16
		.amdhsa_reserve_vcc 1
		.amdhsa_float_round_mode_32 0
		.amdhsa_float_round_mode_16_64 0
		.amdhsa_float_denorm_mode_32 3
		.amdhsa_float_denorm_mode_16_64 3
		.amdhsa_dx10_clamp 1
		.amdhsa_ieee_mode 1
		.amdhsa_fp16_overflow 0
		.amdhsa_workgroup_processor_mode 1
		.amdhsa_memory_ordered 1
		.amdhsa_forward_progress 0
		.amdhsa_shared_vgpr_count 0
		.amdhsa_exception_fp_ieee_invalid_op 0
		.amdhsa_exception_fp_denorm_src 0
		.amdhsa_exception_fp_ieee_div_zero 0
		.amdhsa_exception_fp_ieee_overflow 0
		.amdhsa_exception_fp_ieee_underflow 0
		.amdhsa_exception_fp_ieee_inexact 0
		.amdhsa_exception_int_div_zero 0
	.end_amdhsa_kernel
	.section	.text._Z19thread_store_kernelIjEvPT_S1_,"axG",@progbits,_Z19thread_store_kernelIjEvPT_S1_,comdat
.Lfunc_end33:
	.size	_Z19thread_store_kernelIjEvPT_S1_, .Lfunc_end33-_Z19thread_store_kernelIjEvPT_S1_
                                        ; -- End function
	.section	.AMDGPU.csdata,"",@progbits
; Kernel info:
; codeLenInByte = 464
; NumSgprs: 18
; NumVgprs: 5
; ScratchSize: 0
; MemoryBound: 0
; FloatMode: 240
; IeeeMode: 1
; LDSByteSize: 0 bytes/workgroup (compile time only)
; SGPRBlocks: 2
; VGPRBlocks: 0
; NumSGPRsForWavesPerEU: 18
; NumVGPRsForWavesPerEU: 5
; Occupancy: 16
; WaveLimiterHint : 0
; COMPUTE_PGM_RSRC2:SCRATCH_EN: 0
; COMPUTE_PGM_RSRC2:USER_SGPR: 15
; COMPUTE_PGM_RSRC2:TRAP_HANDLER: 0
; COMPUTE_PGM_RSRC2:TGID_X_EN: 1
; COMPUTE_PGM_RSRC2:TGID_Y_EN: 0
; COMPUTE_PGM_RSRC2:TGID_Z_EN: 0
; COMPUTE_PGM_RSRC2:TIDIG_COMP_CNT: 0
	.section	.text._Z19thread_store_kernelItEvPT_S1_,"axG",@progbits,_Z19thread_store_kernelItEvPT_S1_,comdat
	.protected	_Z19thread_store_kernelItEvPT_S1_ ; -- Begin function _Z19thread_store_kernelItEvPT_S1_
	.globl	_Z19thread_store_kernelItEvPT_S1_
	.p2align	8
	.type	_Z19thread_store_kernelItEvPT_S1_,@function
_Z19thread_store_kernelItEvPT_S1_:      ; @_Z19thread_store_kernelItEvPT_S1_
; %bb.0:
	s_load_b32 s2, s[0:1], 0x1c
	s_waitcnt lgkmcnt(0)
	s_and_b32 s2, s2, 0xffff
	s_delay_alu instid0(SALU_CYCLE_1) | instskip(SKIP_1) | instid1(VALU_DEP_1)
	v_mad_u64_u32 v[1:2], null, s15, s2, v[0:1]
	s_load_b128 s[0:3], s[0:1], 0x0
	v_mul_hi_u32 v0, 0x24924925, v1
	s_delay_alu instid0(VALU_DEP_1) | instskip(NEXT) | instid1(VALU_DEP_1)
	v_sub_nc_u32_e32 v2, v1, v0
	v_lshrrev_b32_e32 v2, 1, v2
	s_delay_alu instid0(VALU_DEP_1) | instskip(SKIP_1) | instid1(VALU_DEP_2)
	v_add_nc_u32_e32 v0, v2, v0
	v_mov_b32_e32 v2, 0
	v_lshrrev_b32_e32 v0, 2, v0
	s_delay_alu instid0(VALU_DEP_2) | instskip(NEXT) | instid1(VALU_DEP_2)
	v_lshlrev_b64 v[2:3], 1, v[1:2]
	v_mul_lo_u32 v0, v0, 7
	s_delay_alu instid0(VALU_DEP_1) | instskip(SKIP_1) | instid1(VALU_DEP_3)
	v_sub_nc_u32_e32 v4, v1, v0
	s_waitcnt lgkmcnt(0)
	v_add_co_u32 v0, vcc_lo, s2, v2
	s_delay_alu instid0(VALU_DEP_4)
	v_add_co_ci_u32_e32 v1, vcc_lo, s3, v3, vcc_lo
	s_mov_b32 s2, exec_lo
	v_cmpx_lt_i32_e32 1, v4
	s_xor_b32 s2, exec_lo, s2
	s_cbranch_execz .LBB34_14
; %bb.1:
	s_mov_b32 s3, exec_lo
	v_cmpx_lt_i32_e32 2, v4
	s_xor_b32 s3, exec_lo, s3
	s_cbranch_execz .LBB34_11
; %bb.2:
	;; [unrolled: 5-line block ×3, first 2 shown]
	s_mov_b32 s5, exec_lo
	v_cmpx_ne_u32_e32 4, v4
	s_xor_b32 s5, exec_lo, s5
	s_cbranch_execz .LBB34_5
; %bb.4:
	v_add_co_u32 v2, vcc_lo, s0, v2
	v_add_co_ci_u32_e32 v3, vcc_lo, s1, v3, vcc_lo
	global_load_u16 v2, v[2:3], off
	s_waitcnt vmcnt(0)
	flat_store_b16 v[0:1], v2 dlc
	s_waitcnt_vscnt null, 0x0
                                        ; implicit-def: $vgpr2_vgpr3
                                        ; implicit-def: $vgpr0_vgpr1
.LBB34_5:
	s_and_not1_saveexec_b32 s5, s5
	s_cbranch_execz .LBB34_7
; %bb.6:
	v_add_co_u32 v2, vcc_lo, s0, v2
	v_add_co_ci_u32_e32 v3, vcc_lo, s1, v3, vcc_lo
	global_load_u16 v2, v[2:3], off
	s_waitcnt vmcnt(0)
	flat_store_b16 v[0:1], v2 dlc
	s_waitcnt_vscnt null, 0x0
.LBB34_7:
	s_or_b32 exec_lo, exec_lo, s5
                                        ; implicit-def: $vgpr2_vgpr3
                                        ; implicit-def: $vgpr0_vgpr1
.LBB34_8:
	s_and_not1_saveexec_b32 s4, s4
	s_cbranch_execz .LBB34_10
; %bb.9:
	v_add_co_u32 v2, vcc_lo, s0, v2
	v_add_co_ci_u32_e32 v3, vcc_lo, s1, v3, vcc_lo
	global_load_u16 v2, v[2:3], off
	s_waitcnt vmcnt(0)
	global_store_b16 v[0:1], v2, off glc slc dlc
.LBB34_10:
	s_or_b32 exec_lo, exec_lo, s4
                                        ; implicit-def: $vgpr2_vgpr3
                                        ; implicit-def: $vgpr0_vgpr1
.LBB34_11:
	s_and_not1_saveexec_b32 s3, s3
	s_cbranch_execz .LBB34_13
; %bb.12:
	v_add_co_u32 v2, vcc_lo, s0, v2
	v_add_co_ci_u32_e32 v3, vcc_lo, s1, v3, vcc_lo
	global_load_u16 v2, v[2:3], off
	s_waitcnt vmcnt(0)
	global_store_b16 v[0:1], v2, off
.LBB34_13:
	s_or_b32 exec_lo, exec_lo, s3
                                        ; implicit-def: $vgpr2_vgpr3
                                        ; implicit-def: $vgpr0_vgpr1
                                        ; implicit-def: $vgpr4
.LBB34_14:
	s_and_not1_saveexec_b32 s2, s2
	s_cbranch_execz .LBB34_19
; %bb.15:
	s_mov_b32 s2, exec_lo
	v_cmpx_lt_i32_e32 0, v4
	s_xor_b32 s2, exec_lo, s2
	s_cbranch_execz .LBB34_17
; %bb.16:
	v_add_co_u32 v2, vcc_lo, s0, v2
	v_add_co_ci_u32_e32 v3, vcc_lo, s1, v3, vcc_lo
	global_load_u16 v2, v[2:3], off
	s_waitcnt vmcnt(0)
	global_store_b16 v[0:1], v2, off
                                        ; implicit-def: $vgpr2_vgpr3
                                        ; implicit-def: $vgpr0_vgpr1
.LBB34_17:
	s_and_not1_saveexec_b32 s2, s2
	s_cbranch_execz .LBB34_19
; %bb.18:
	v_add_co_u32 v2, vcc_lo, s0, v2
	v_add_co_ci_u32_e32 v3, vcc_lo, s1, v3, vcc_lo
	global_load_u16 v2, v[2:3], off
	s_waitcnt vmcnt(0)
	global_store_b16 v[0:1], v2, off
.LBB34_19:
	s_endpgm
	.section	.rodata,"a",@progbits
	.p2align	6, 0x0
	.amdhsa_kernel _Z19thread_store_kernelItEvPT_S1_
		.amdhsa_group_segment_fixed_size 0
		.amdhsa_private_segment_fixed_size 0
		.amdhsa_kernarg_size 272
		.amdhsa_user_sgpr_count 15
		.amdhsa_user_sgpr_dispatch_ptr 0
		.amdhsa_user_sgpr_queue_ptr 0
		.amdhsa_user_sgpr_kernarg_segment_ptr 1
		.amdhsa_user_sgpr_dispatch_id 0
		.amdhsa_user_sgpr_private_segment_size 0
		.amdhsa_wavefront_size32 1
		.amdhsa_uses_dynamic_stack 0
		.amdhsa_enable_private_segment 0
		.amdhsa_system_sgpr_workgroup_id_x 1
		.amdhsa_system_sgpr_workgroup_id_y 0
		.amdhsa_system_sgpr_workgroup_id_z 0
		.amdhsa_system_sgpr_workgroup_info 0
		.amdhsa_system_vgpr_workitem_id 0
		.amdhsa_next_free_vgpr 5
		.amdhsa_next_free_sgpr 16
		.amdhsa_reserve_vcc 1
		.amdhsa_float_round_mode_32 0
		.amdhsa_float_round_mode_16_64 0
		.amdhsa_float_denorm_mode_32 3
		.amdhsa_float_denorm_mode_16_64 3
		.amdhsa_dx10_clamp 1
		.amdhsa_ieee_mode 1
		.amdhsa_fp16_overflow 0
		.amdhsa_workgroup_processor_mode 1
		.amdhsa_memory_ordered 1
		.amdhsa_forward_progress 0
		.amdhsa_shared_vgpr_count 0
		.amdhsa_exception_fp_ieee_invalid_op 0
		.amdhsa_exception_fp_denorm_src 0
		.amdhsa_exception_fp_ieee_div_zero 0
		.amdhsa_exception_fp_ieee_overflow 0
		.amdhsa_exception_fp_ieee_underflow 0
		.amdhsa_exception_fp_ieee_inexact 0
		.amdhsa_exception_int_div_zero 0
	.end_amdhsa_kernel
	.section	.text._Z19thread_store_kernelItEvPT_S1_,"axG",@progbits,_Z19thread_store_kernelItEvPT_S1_,comdat
.Lfunc_end34:
	.size	_Z19thread_store_kernelItEvPT_S1_, .Lfunc_end34-_Z19thread_store_kernelItEvPT_S1_
                                        ; -- End function
	.section	.AMDGPU.csdata,"",@progbits
; Kernel info:
; codeLenInByte = 464
; NumSgprs: 18
; NumVgprs: 5
; ScratchSize: 0
; MemoryBound: 0
; FloatMode: 240
; IeeeMode: 1
; LDSByteSize: 0 bytes/workgroup (compile time only)
; SGPRBlocks: 2
; VGPRBlocks: 0
; NumSGPRsForWavesPerEU: 18
; NumVGPRsForWavesPerEU: 5
; Occupancy: 16
; WaveLimiterHint : 0
; COMPUTE_PGM_RSRC2:SCRATCH_EN: 0
; COMPUTE_PGM_RSRC2:USER_SGPR: 15
; COMPUTE_PGM_RSRC2:TRAP_HANDLER: 0
; COMPUTE_PGM_RSRC2:TGID_X_EN: 1
; COMPUTE_PGM_RSRC2:TGID_Y_EN: 0
; COMPUTE_PGM_RSRC2:TGID_Z_EN: 0
; COMPUTE_PGM_RSRC2:TIDIG_COMP_CNT: 0
	.section	.text._Z19thread_store_kernelIhEvPT_S1_,"axG",@progbits,_Z19thread_store_kernelIhEvPT_S1_,comdat
	.protected	_Z19thread_store_kernelIhEvPT_S1_ ; -- Begin function _Z19thread_store_kernelIhEvPT_S1_
	.globl	_Z19thread_store_kernelIhEvPT_S1_
	.p2align	8
	.type	_Z19thread_store_kernelIhEvPT_S1_,@function
_Z19thread_store_kernelIhEvPT_S1_:      ; @_Z19thread_store_kernelIhEvPT_S1_
; %bb.0:
	s_load_b32 s2, s[0:1], 0x1c
	s_waitcnt lgkmcnt(0)
	s_and_b32 s2, s2, 0xffff
	s_delay_alu instid0(SALU_CYCLE_1) | instskip(SKIP_1) | instid1(VALU_DEP_1)
	v_mad_u64_u32 v[2:3], null, s15, s2, v[0:1]
	s_load_b128 s[0:3], s[0:1], 0x0
	v_mul_hi_u32 v0, 0x24924925, v2
	s_delay_alu instid0(VALU_DEP_1) | instskip(NEXT) | instid1(VALU_DEP_1)
	v_sub_nc_u32_e32 v1, v2, v0
	v_lshrrev_b32_e32 v1, 1, v1
	s_delay_alu instid0(VALU_DEP_1) | instskip(NEXT) | instid1(VALU_DEP_1)
	v_add_nc_u32_e32 v0, v1, v0
	v_lshrrev_b32_e32 v0, 2, v0
	s_delay_alu instid0(VALU_DEP_1) | instskip(NEXT) | instid1(VALU_DEP_1)
	v_mul_lo_u32 v0, v0, 7
	v_sub_nc_u32_e32 v3, v2, v0
	s_waitcnt lgkmcnt(0)
	v_add_co_u32 v0, s2, s2, v2
	s_delay_alu instid0(VALU_DEP_1)
	v_add_co_ci_u32_e64 v1, null, s3, 0, s2
	s_mov_b32 s2, exec_lo
	v_cmpx_lt_i32_e32 1, v3
	s_xor_b32 s2, exec_lo, s2
	s_cbranch_execz .LBB35_14
; %bb.1:
	s_mov_b32 s3, exec_lo
	v_cmpx_lt_i32_e32 2, v3
	s_xor_b32 s3, exec_lo, s3
	s_cbranch_execz .LBB35_11
; %bb.2:
	;; [unrolled: 5-line block ×3, first 2 shown]
	s_mov_b32 s5, exec_lo
	v_cmpx_ne_u32_e32 4, v3
	s_xor_b32 s5, exec_lo, s5
	s_cbranch_execz .LBB35_5
; %bb.4:
	v_add_co_u32 v2, s6, s0, v2
	s_delay_alu instid0(VALU_DEP_1)
	v_add_co_ci_u32_e64 v3, null, s1, 0, s6
	global_load_u8 v2, v[2:3], off
	s_waitcnt vmcnt(0)
	flat_store_b8 v[0:1], v2 dlc
	s_waitcnt_vscnt null, 0x0
                                        ; implicit-def: $vgpr2_vgpr3
                                        ; implicit-def: $vgpr0_vgpr1
.LBB35_5:
	s_and_not1_saveexec_b32 s5, s5
	s_cbranch_execz .LBB35_7
; %bb.6:
	v_add_co_u32 v2, s6, s0, v2
	s_delay_alu instid0(VALU_DEP_1)
	v_add_co_ci_u32_e64 v3, null, s1, 0, s6
	global_load_u8 v2, v[2:3], off
	s_waitcnt vmcnt(0)
	flat_store_b8 v[0:1], v2 dlc
	s_waitcnt_vscnt null, 0x0
.LBB35_7:
	s_or_b32 exec_lo, exec_lo, s5
                                        ; implicit-def: $vgpr2_vgpr3
                                        ; implicit-def: $vgpr0_vgpr1
.LBB35_8:
	s_and_not1_saveexec_b32 s4, s4
	s_cbranch_execz .LBB35_10
; %bb.9:
	v_add_co_u32 v2, s5, s0, v2
	s_delay_alu instid0(VALU_DEP_1)
	v_add_co_ci_u32_e64 v3, null, s1, 0, s5
	global_load_u8 v2, v[2:3], off
	s_waitcnt vmcnt(0)
	global_store_b8 v[0:1], v2, off glc slc dlc
.LBB35_10:
	s_or_b32 exec_lo, exec_lo, s4
                                        ; implicit-def: $vgpr2_vgpr3
                                        ; implicit-def: $vgpr0_vgpr1
.LBB35_11:
	s_and_not1_saveexec_b32 s3, s3
	s_cbranch_execz .LBB35_13
; %bb.12:
	v_add_co_u32 v2, s4, s0, v2
	s_delay_alu instid0(VALU_DEP_1)
	v_add_co_ci_u32_e64 v3, null, s1, 0, s4
	global_load_u8 v2, v[2:3], off
	s_waitcnt vmcnt(0)
	global_store_b8 v[0:1], v2, off
.LBB35_13:
	s_or_b32 exec_lo, exec_lo, s3
                                        ; implicit-def: $vgpr2_vgpr3
                                        ; implicit-def: $vgpr0_vgpr1
                                        ; implicit-def: $vgpr3
.LBB35_14:
	s_and_not1_saveexec_b32 s2, s2
	s_cbranch_execz .LBB35_19
; %bb.15:
	s_mov_b32 s2, exec_lo
	v_cmpx_lt_i32_e32 0, v3
	s_xor_b32 s2, exec_lo, s2
	s_cbranch_execz .LBB35_17
; %bb.16:
	v_add_co_u32 v2, s3, s0, v2
	s_delay_alu instid0(VALU_DEP_1)
	v_add_co_ci_u32_e64 v3, null, s1, 0, s3
	global_load_u8 v2, v[2:3], off
	s_waitcnt vmcnt(0)
	global_store_b8 v[0:1], v2, off
                                        ; implicit-def: $vgpr2_vgpr3
                                        ; implicit-def: $vgpr0_vgpr1
.LBB35_17:
	s_and_not1_saveexec_b32 s2, s2
	s_cbranch_execz .LBB35_19
; %bb.18:
	v_add_co_u32 v2, s0, s0, v2
	s_delay_alu instid0(VALU_DEP_1)
	v_add_co_ci_u32_e64 v3, null, s1, 0, s0
	global_load_u8 v2, v[2:3], off
	s_waitcnt vmcnt(0)
	global_store_b8 v[0:1], v2, off
.LBB35_19:
	s_endpgm
	.section	.rodata,"a",@progbits
	.p2align	6, 0x0
	.amdhsa_kernel _Z19thread_store_kernelIhEvPT_S1_
		.amdhsa_group_segment_fixed_size 0
		.amdhsa_private_segment_fixed_size 0
		.amdhsa_kernarg_size 272
		.amdhsa_user_sgpr_count 15
		.amdhsa_user_sgpr_dispatch_ptr 0
		.amdhsa_user_sgpr_queue_ptr 0
		.amdhsa_user_sgpr_kernarg_segment_ptr 1
		.amdhsa_user_sgpr_dispatch_id 0
		.amdhsa_user_sgpr_private_segment_size 0
		.amdhsa_wavefront_size32 1
		.amdhsa_uses_dynamic_stack 0
		.amdhsa_enable_private_segment 0
		.amdhsa_system_sgpr_workgroup_id_x 1
		.amdhsa_system_sgpr_workgroup_id_y 0
		.amdhsa_system_sgpr_workgroup_id_z 0
		.amdhsa_system_sgpr_workgroup_info 0
		.amdhsa_system_vgpr_workitem_id 0
		.amdhsa_next_free_vgpr 4
		.amdhsa_next_free_sgpr 16
		.amdhsa_reserve_vcc 0
		.amdhsa_float_round_mode_32 0
		.amdhsa_float_round_mode_16_64 0
		.amdhsa_float_denorm_mode_32 3
		.amdhsa_float_denorm_mode_16_64 3
		.amdhsa_dx10_clamp 1
		.amdhsa_ieee_mode 1
		.amdhsa_fp16_overflow 0
		.amdhsa_workgroup_processor_mode 1
		.amdhsa_memory_ordered 1
		.amdhsa_forward_progress 0
		.amdhsa_shared_vgpr_count 0
		.amdhsa_exception_fp_ieee_invalid_op 0
		.amdhsa_exception_fp_denorm_src 0
		.amdhsa_exception_fp_ieee_div_zero 0
		.amdhsa_exception_fp_ieee_overflow 0
		.amdhsa_exception_fp_ieee_underflow 0
		.amdhsa_exception_fp_ieee_inexact 0
		.amdhsa_exception_int_div_zero 0
	.end_amdhsa_kernel
	.section	.text._Z19thread_store_kernelIhEvPT_S1_,"axG",@progbits,_Z19thread_store_kernelIhEvPT_S1_,comdat
.Lfunc_end35:
	.size	_Z19thread_store_kernelIhEvPT_S1_, .Lfunc_end35-_Z19thread_store_kernelIhEvPT_S1_
                                        ; -- End function
	.section	.AMDGPU.csdata,"",@progbits
; Kernel info:
; codeLenInByte = 500
; NumSgprs: 16
; NumVgprs: 4
; ScratchSize: 0
; MemoryBound: 0
; FloatMode: 240
; IeeeMode: 1
; LDSByteSize: 0 bytes/workgroup (compile time only)
; SGPRBlocks: 1
; VGPRBlocks: 0
; NumSGPRsForWavesPerEU: 16
; NumVGPRsForWavesPerEU: 4
; Occupancy: 16
; WaveLimiterHint : 0
; COMPUTE_PGM_RSRC2:SCRATCH_EN: 0
; COMPUTE_PGM_RSRC2:USER_SGPR: 15
; COMPUTE_PGM_RSRC2:TRAP_HANDLER: 0
; COMPUTE_PGM_RSRC2:TGID_X_EN: 1
; COMPUTE_PGM_RSRC2:TGID_Y_EN: 0
; COMPUTE_PGM_RSRC2:TGID_Z_EN: 0
; COMPUTE_PGM_RSRC2:TIDIG_COMP_CNT: 0
	.section	.text._Z20thread_reduce_kernelIoLi4EEvPT_S1_,"axG",@progbits,_Z20thread_reduce_kernelIoLi4EEvPT_S1_,comdat
	.protected	_Z20thread_reduce_kernelIoLi4EEvPT_S1_ ; -- Begin function _Z20thread_reduce_kernelIoLi4EEvPT_S1_
	.globl	_Z20thread_reduce_kernelIoLi4EEvPT_S1_
	.p2align	8
	.type	_Z20thread_reduce_kernelIoLi4EEvPT_S1_,@function
_Z20thread_reduce_kernelIoLi4EEvPT_S1_: ; @_Z20thread_reduce_kernelIoLi4EEvPT_S1_
; %bb.0:
	s_clause 0x1
	s_load_b32 s4, s[0:1], 0x1c
	s_load_b128 s[0:3], s[0:1], 0x0
	v_mov_b32_e32 v1, 0
	s_waitcnt lgkmcnt(0)
	s_and_b32 s4, s4, 0xffff
	s_delay_alu instid0(SALU_CYCLE_1) | instskip(NEXT) | instid1(SALU_CYCLE_1)
	s_mul_i32 s15, s15, s4
	v_add_lshl_u32 v0, s15, v0, 2
	s_delay_alu instid0(VALU_DEP_1) | instskip(NEXT) | instid1(VALU_DEP_1)
	v_lshlrev_b64 v[16:17], 4, v[0:1]
	v_add_co_u32 v12, vcc_lo, s0, v16
	s_delay_alu instid0(VALU_DEP_2)
	v_add_co_ci_u32_e32 v13, vcc_lo, s1, v17, vcc_lo
	s_clause 0x3
	global_load_b128 v[0:3], v[12:13], off offset:16
	global_load_b128 v[4:7], v[12:13], off
	global_load_b128 v[8:11], v[12:13], off offset:32
	global_load_b128 v[12:15], v[12:13], off offset:48
	s_waitcnt vmcnt(2)
	v_add_co_u32 v0, vcc_lo, v0, v4
	v_add_co_ci_u32_e32 v1, vcc_lo, v1, v5, vcc_lo
	v_add_co_ci_u32_e32 v2, vcc_lo, v2, v6, vcc_lo
	v_add_co_ci_u32_e32 v3, vcc_lo, v3, v7, vcc_lo
	s_waitcnt vmcnt(1)
	v_add_co_u32 v0, vcc_lo, v0, v8
	v_add_co_ci_u32_e32 v1, vcc_lo, v1, v9, vcc_lo
	v_add_co_ci_u32_e32 v2, vcc_lo, v2, v10, vcc_lo
	v_add_co_ci_u32_e32 v3, vcc_lo, v3, v11, vcc_lo
	;; [unrolled: 5-line block ×3, first 2 shown]
	v_add_co_u32 v4, vcc_lo, s2, v16
	v_add_co_ci_u32_e32 v5, vcc_lo, s3, v17, vcc_lo
	global_store_b128 v[4:5], v[0:3], off
	s_nop 0
	s_sendmsg sendmsg(MSG_DEALLOC_VGPRS)
	s_endpgm
	.section	.rodata,"a",@progbits
	.p2align	6, 0x0
	.amdhsa_kernel _Z20thread_reduce_kernelIoLi4EEvPT_S1_
		.amdhsa_group_segment_fixed_size 0
		.amdhsa_private_segment_fixed_size 0
		.amdhsa_kernarg_size 272
		.amdhsa_user_sgpr_count 15
		.amdhsa_user_sgpr_dispatch_ptr 0
		.amdhsa_user_sgpr_queue_ptr 0
		.amdhsa_user_sgpr_kernarg_segment_ptr 1
		.amdhsa_user_sgpr_dispatch_id 0
		.amdhsa_user_sgpr_private_segment_size 0
		.amdhsa_wavefront_size32 1
		.amdhsa_uses_dynamic_stack 0
		.amdhsa_enable_private_segment 0
		.amdhsa_system_sgpr_workgroup_id_x 1
		.amdhsa_system_sgpr_workgroup_id_y 0
		.amdhsa_system_sgpr_workgroup_id_z 0
		.amdhsa_system_sgpr_workgroup_info 0
		.amdhsa_system_vgpr_workitem_id 0
		.amdhsa_next_free_vgpr 18
		.amdhsa_next_free_sgpr 16
		.amdhsa_reserve_vcc 1
		.amdhsa_float_round_mode_32 0
		.amdhsa_float_round_mode_16_64 0
		.amdhsa_float_denorm_mode_32 3
		.amdhsa_float_denorm_mode_16_64 3
		.amdhsa_dx10_clamp 1
		.amdhsa_ieee_mode 1
		.amdhsa_fp16_overflow 0
		.amdhsa_workgroup_processor_mode 1
		.amdhsa_memory_ordered 1
		.amdhsa_forward_progress 0
		.amdhsa_shared_vgpr_count 0
		.amdhsa_exception_fp_ieee_invalid_op 0
		.amdhsa_exception_fp_denorm_src 0
		.amdhsa_exception_fp_ieee_div_zero 0
		.amdhsa_exception_fp_ieee_overflow 0
		.amdhsa_exception_fp_ieee_underflow 0
		.amdhsa_exception_fp_ieee_inexact 0
		.amdhsa_exception_int_div_zero 0
	.end_amdhsa_kernel
	.section	.text._Z20thread_reduce_kernelIoLi4EEvPT_S1_,"axG",@progbits,_Z20thread_reduce_kernelIoLi4EEvPT_S1_,comdat
.Lfunc_end36:
	.size	_Z20thread_reduce_kernelIoLi4EEvPT_S1_, .Lfunc_end36-_Z20thread_reduce_kernelIoLi4EEvPT_S1_
                                        ; -- End function
	.section	.AMDGPU.csdata,"",@progbits
; Kernel info:
; codeLenInByte = 220
; NumSgprs: 18
; NumVgprs: 18
; ScratchSize: 0
; MemoryBound: 1
; FloatMode: 240
; IeeeMode: 1
; LDSByteSize: 0 bytes/workgroup (compile time only)
; SGPRBlocks: 2
; VGPRBlocks: 2
; NumSGPRsForWavesPerEU: 18
; NumVGPRsForWavesPerEU: 18
; Occupancy: 16
; WaveLimiterHint : 1
; COMPUTE_PGM_RSRC2:SCRATCH_EN: 0
; COMPUTE_PGM_RSRC2:USER_SGPR: 15
; COMPUTE_PGM_RSRC2:TRAP_HANDLER: 0
; COMPUTE_PGM_RSRC2:TGID_X_EN: 1
; COMPUTE_PGM_RSRC2:TGID_Y_EN: 0
; COMPUTE_PGM_RSRC2:TGID_Z_EN: 0
; COMPUTE_PGM_RSRC2:TIDIG_COMP_CNT: 0
	.section	.text._Z20thread_reduce_kernelIN6common11custom_typeIddLb1EEELi4EEvPT_S4_,"axG",@progbits,_Z20thread_reduce_kernelIN6common11custom_typeIddLb1EEELi4EEvPT_S4_,comdat
	.protected	_Z20thread_reduce_kernelIN6common11custom_typeIddLb1EEELi4EEvPT_S4_ ; -- Begin function _Z20thread_reduce_kernelIN6common11custom_typeIddLb1EEELi4EEvPT_S4_
	.globl	_Z20thread_reduce_kernelIN6common11custom_typeIddLb1EEELi4EEvPT_S4_
	.p2align	8
	.type	_Z20thread_reduce_kernelIN6common11custom_typeIddLb1EEELi4EEvPT_S4_,@function
_Z20thread_reduce_kernelIN6common11custom_typeIddLb1EEELi4EEvPT_S4_: ; @_Z20thread_reduce_kernelIN6common11custom_typeIddLb1EEELi4EEvPT_S4_
; %bb.0:
	s_clause 0x1
	s_load_b32 s4, s[0:1], 0x1c
	s_load_b128 s[0:3], s[0:1], 0x0
	v_mov_b32_e32 v1, 0
	s_waitcnt lgkmcnt(0)
	s_and_b32 s4, s4, 0xffff
	s_delay_alu instid0(SALU_CYCLE_1) | instskip(NEXT) | instid1(SALU_CYCLE_1)
	s_mul_i32 s15, s15, s4
	v_add_lshl_u32 v0, s15, v0, 2
	s_delay_alu instid0(VALU_DEP_1) | instskip(NEXT) | instid1(VALU_DEP_1)
	v_lshlrev_b64 v[16:17], 4, v[0:1]
	v_add_co_u32 v12, vcc_lo, s0, v16
	s_delay_alu instid0(VALU_DEP_2)
	v_add_co_ci_u32_e32 v13, vcc_lo, s1, v17, vcc_lo
	s_clause 0x3
	global_load_b128 v[0:3], v[12:13], off
	global_load_b128 v[4:7], v[12:13], off offset:16
	global_load_b128 v[8:11], v[12:13], off offset:32
	;; [unrolled: 1-line block ×3, first 2 shown]
	s_waitcnt vmcnt(3)
	v_add_f64 v[0:1], v[0:1], 0
	v_add_f64 v[2:3], v[2:3], 0
	s_waitcnt vmcnt(2)
	s_delay_alu instid0(VALU_DEP_2) | instskip(NEXT) | instid1(VALU_DEP_2)
	v_add_f64 v[0:1], v[0:1], v[4:5]
	v_add_f64 v[2:3], v[2:3], v[6:7]
	v_add_co_u32 v4, vcc_lo, s2, v16
	v_add_co_ci_u32_e32 v5, vcc_lo, s3, v17, vcc_lo
	s_waitcnt vmcnt(1)
	s_delay_alu instid0(VALU_DEP_4) | instskip(NEXT) | instid1(VALU_DEP_4)
	v_add_f64 v[0:1], v[0:1], v[8:9]
	v_add_f64 v[2:3], v[2:3], v[10:11]
	s_waitcnt vmcnt(0)
	s_delay_alu instid0(VALU_DEP_2) | instskip(NEXT) | instid1(VALU_DEP_2)
	v_add_f64 v[0:1], v[0:1], v[12:13]
	v_add_f64 v[2:3], v[2:3], v[14:15]
	global_store_b128 v[4:5], v[0:3], off
	s_nop 0
	s_sendmsg sendmsg(MSG_DEALLOC_VGPRS)
	s_endpgm
	.section	.rodata,"a",@progbits
	.p2align	6, 0x0
	.amdhsa_kernel _Z20thread_reduce_kernelIN6common11custom_typeIddLb1EEELi4EEvPT_S4_
		.amdhsa_group_segment_fixed_size 0
		.amdhsa_private_segment_fixed_size 0
		.amdhsa_kernarg_size 272
		.amdhsa_user_sgpr_count 15
		.amdhsa_user_sgpr_dispatch_ptr 0
		.amdhsa_user_sgpr_queue_ptr 0
		.amdhsa_user_sgpr_kernarg_segment_ptr 1
		.amdhsa_user_sgpr_dispatch_id 0
		.amdhsa_user_sgpr_private_segment_size 0
		.amdhsa_wavefront_size32 1
		.amdhsa_uses_dynamic_stack 0
		.amdhsa_enable_private_segment 0
		.amdhsa_system_sgpr_workgroup_id_x 1
		.amdhsa_system_sgpr_workgroup_id_y 0
		.amdhsa_system_sgpr_workgroup_id_z 0
		.amdhsa_system_sgpr_workgroup_info 0
		.amdhsa_system_vgpr_workitem_id 0
		.amdhsa_next_free_vgpr 18
		.amdhsa_next_free_sgpr 16
		.amdhsa_reserve_vcc 1
		.amdhsa_float_round_mode_32 0
		.amdhsa_float_round_mode_16_64 0
		.amdhsa_float_denorm_mode_32 3
		.amdhsa_float_denorm_mode_16_64 3
		.amdhsa_dx10_clamp 1
		.amdhsa_ieee_mode 1
		.amdhsa_fp16_overflow 0
		.amdhsa_workgroup_processor_mode 1
		.amdhsa_memory_ordered 1
		.amdhsa_forward_progress 0
		.amdhsa_shared_vgpr_count 0
		.amdhsa_exception_fp_ieee_invalid_op 0
		.amdhsa_exception_fp_denorm_src 0
		.amdhsa_exception_fp_ieee_div_zero 0
		.amdhsa_exception_fp_ieee_overflow 0
		.amdhsa_exception_fp_ieee_underflow 0
		.amdhsa_exception_fp_ieee_inexact 0
		.amdhsa_exception_int_div_zero 0
	.end_amdhsa_kernel
	.section	.text._Z20thread_reduce_kernelIN6common11custom_typeIddLb1EEELi4EEvPT_S4_,"axG",@progbits,_Z20thread_reduce_kernelIN6common11custom_typeIddLb1EEELi4EEvPT_S4_,comdat
.Lfunc_end37:
	.size	_Z20thread_reduce_kernelIN6common11custom_typeIddLb1EEELi4EEvPT_S4_, .Lfunc_end37-_Z20thread_reduce_kernelIN6common11custom_typeIddLb1EEELi4EEvPT_S4_
                                        ; -- End function
	.section	.AMDGPU.csdata,"",@progbits
; Kernel info:
; codeLenInByte = 240
; NumSgprs: 18
; NumVgprs: 18
; ScratchSize: 0
; MemoryBound: 0
; FloatMode: 240
; IeeeMode: 1
; LDSByteSize: 0 bytes/workgroup (compile time only)
; SGPRBlocks: 2
; VGPRBlocks: 2
; NumSGPRsForWavesPerEU: 18
; NumVGPRsForWavesPerEU: 18
; Occupancy: 16
; WaveLimiterHint : 0
; COMPUTE_PGM_RSRC2:SCRATCH_EN: 0
; COMPUTE_PGM_RSRC2:USER_SGPR: 15
; COMPUTE_PGM_RSRC2:TRAP_HANDLER: 0
; COMPUTE_PGM_RSRC2:TGID_X_EN: 1
; COMPUTE_PGM_RSRC2:TGID_Y_EN: 0
; COMPUTE_PGM_RSRC2:TGID_Z_EN: 0
; COMPUTE_PGM_RSRC2:TIDIG_COMP_CNT: 0
	.section	.text._Z20thread_reduce_kernelIN6common11custom_typeImmLb1EEELi4EEvPT_S4_,"axG",@progbits,_Z20thread_reduce_kernelIN6common11custom_typeImmLb1EEELi4EEvPT_S4_,comdat
	.protected	_Z20thread_reduce_kernelIN6common11custom_typeImmLb1EEELi4EEvPT_S4_ ; -- Begin function _Z20thread_reduce_kernelIN6common11custom_typeImmLb1EEELi4EEvPT_S4_
	.globl	_Z20thread_reduce_kernelIN6common11custom_typeImmLb1EEELi4EEvPT_S4_
	.p2align	8
	.type	_Z20thread_reduce_kernelIN6common11custom_typeImmLb1EEELi4EEvPT_S4_,@function
_Z20thread_reduce_kernelIN6common11custom_typeImmLb1EEELi4EEvPT_S4_: ; @_Z20thread_reduce_kernelIN6common11custom_typeImmLb1EEELi4EEvPT_S4_
; %bb.0:
	s_clause 0x1
	s_load_b32 s4, s[0:1], 0x1c
	s_load_b128 s[0:3], s[0:1], 0x0
	v_mov_b32_e32 v1, 0
	s_waitcnt lgkmcnt(0)
	s_and_b32 s4, s4, 0xffff
	s_delay_alu instid0(SALU_CYCLE_1) | instskip(NEXT) | instid1(SALU_CYCLE_1)
	s_mul_i32 s15, s15, s4
	v_add_lshl_u32 v0, s15, v0, 2
	s_delay_alu instid0(VALU_DEP_1) | instskip(NEXT) | instid1(VALU_DEP_1)
	v_lshlrev_b64 v[16:17], 4, v[0:1]
	v_add_co_u32 v12, vcc_lo, s0, v16
	s_delay_alu instid0(VALU_DEP_2)
	v_add_co_ci_u32_e32 v13, vcc_lo, s1, v17, vcc_lo
	s_clause 0x3
	global_load_b128 v[0:3], v[12:13], off offset:16
	global_load_b128 v[4:7], v[12:13], off
	global_load_b128 v[8:11], v[12:13], off offset:32
	global_load_b128 v[12:15], v[12:13], off offset:48
	s_waitcnt vmcnt(2)
	v_add_co_u32 v0, vcc_lo, v0, v4
	v_add_co_ci_u32_e32 v1, vcc_lo, v1, v5, vcc_lo
	v_add_co_u32 v2, vcc_lo, v2, v6
	v_add_co_ci_u32_e32 v3, vcc_lo, v3, v7, vcc_lo
	s_waitcnt vmcnt(1)
	v_add_co_u32 v0, vcc_lo, v0, v8
	v_add_co_ci_u32_e32 v1, vcc_lo, v1, v9, vcc_lo
	v_add_co_u32 v2, vcc_lo, v2, v10
	v_add_co_ci_u32_e32 v3, vcc_lo, v3, v11, vcc_lo
	;; [unrolled: 5-line block ×3, first 2 shown]
	v_add_co_u32 v4, vcc_lo, s2, v16
	v_add_co_ci_u32_e32 v5, vcc_lo, s3, v17, vcc_lo
	global_store_b128 v[4:5], v[0:3], off
	s_nop 0
	s_sendmsg sendmsg(MSG_DEALLOC_VGPRS)
	s_endpgm
	.section	.rodata,"a",@progbits
	.p2align	6, 0x0
	.amdhsa_kernel _Z20thread_reduce_kernelIN6common11custom_typeImmLb1EEELi4EEvPT_S4_
		.amdhsa_group_segment_fixed_size 0
		.amdhsa_private_segment_fixed_size 0
		.amdhsa_kernarg_size 272
		.amdhsa_user_sgpr_count 15
		.amdhsa_user_sgpr_dispatch_ptr 0
		.amdhsa_user_sgpr_queue_ptr 0
		.amdhsa_user_sgpr_kernarg_segment_ptr 1
		.amdhsa_user_sgpr_dispatch_id 0
		.amdhsa_user_sgpr_private_segment_size 0
		.amdhsa_wavefront_size32 1
		.amdhsa_uses_dynamic_stack 0
		.amdhsa_enable_private_segment 0
		.amdhsa_system_sgpr_workgroup_id_x 1
		.amdhsa_system_sgpr_workgroup_id_y 0
		.amdhsa_system_sgpr_workgroup_id_z 0
		.amdhsa_system_sgpr_workgroup_info 0
		.amdhsa_system_vgpr_workitem_id 0
		.amdhsa_next_free_vgpr 18
		.amdhsa_next_free_sgpr 16
		.amdhsa_reserve_vcc 1
		.amdhsa_float_round_mode_32 0
		.amdhsa_float_round_mode_16_64 0
		.amdhsa_float_denorm_mode_32 3
		.amdhsa_float_denorm_mode_16_64 3
		.amdhsa_dx10_clamp 1
		.amdhsa_ieee_mode 1
		.amdhsa_fp16_overflow 0
		.amdhsa_workgroup_processor_mode 1
		.amdhsa_memory_ordered 1
		.amdhsa_forward_progress 0
		.amdhsa_shared_vgpr_count 0
		.amdhsa_exception_fp_ieee_invalid_op 0
		.amdhsa_exception_fp_denorm_src 0
		.amdhsa_exception_fp_ieee_div_zero 0
		.amdhsa_exception_fp_ieee_overflow 0
		.amdhsa_exception_fp_ieee_underflow 0
		.amdhsa_exception_fp_ieee_inexact 0
		.amdhsa_exception_int_div_zero 0
	.end_amdhsa_kernel
	.section	.text._Z20thread_reduce_kernelIN6common11custom_typeImmLb1EEELi4EEvPT_S4_,"axG",@progbits,_Z20thread_reduce_kernelIN6common11custom_typeImmLb1EEELi4EEvPT_S4_,comdat
.Lfunc_end38:
	.size	_Z20thread_reduce_kernelIN6common11custom_typeImmLb1EEELi4EEvPT_S4_, .Lfunc_end38-_Z20thread_reduce_kernelIN6common11custom_typeImmLb1EEELi4EEvPT_S4_
                                        ; -- End function
	.section	.AMDGPU.csdata,"",@progbits
; Kernel info:
; codeLenInByte = 232
; NumSgprs: 18
; NumVgprs: 18
; ScratchSize: 0
; MemoryBound: 0
; FloatMode: 240
; IeeeMode: 1
; LDSByteSize: 0 bytes/workgroup (compile time only)
; SGPRBlocks: 2
; VGPRBlocks: 2
; NumSGPRsForWavesPerEU: 18
; NumVGPRsForWavesPerEU: 18
; Occupancy: 16
; WaveLimiterHint : 0
; COMPUTE_PGM_RSRC2:SCRATCH_EN: 0
; COMPUTE_PGM_RSRC2:USER_SGPR: 15
; COMPUTE_PGM_RSRC2:TRAP_HANDLER: 0
; COMPUTE_PGM_RSRC2:TGID_X_EN: 1
; COMPUTE_PGM_RSRC2:TGID_Y_EN: 0
; COMPUTE_PGM_RSRC2:TGID_Z_EN: 0
; COMPUTE_PGM_RSRC2:TIDIG_COMP_CNT: 0
	.section	.text._Z20thread_reduce_kernelIdLi4EEvPT_S1_,"axG",@progbits,_Z20thread_reduce_kernelIdLi4EEvPT_S1_,comdat
	.protected	_Z20thread_reduce_kernelIdLi4EEvPT_S1_ ; -- Begin function _Z20thread_reduce_kernelIdLi4EEvPT_S1_
	.globl	_Z20thread_reduce_kernelIdLi4EEvPT_S1_
	.p2align	8
	.type	_Z20thread_reduce_kernelIdLi4EEvPT_S1_,@function
_Z20thread_reduce_kernelIdLi4EEvPT_S1_: ; @_Z20thread_reduce_kernelIdLi4EEvPT_S1_
; %bb.0:
	s_clause 0x1
	s_load_b32 s4, s[0:1], 0x1c
	s_load_b128 s[0:3], s[0:1], 0x0
	v_mov_b32_e32 v1, 0
	s_waitcnt lgkmcnt(0)
	s_and_b32 s4, s4, 0xffff
	s_delay_alu instid0(SALU_CYCLE_1) | instskip(NEXT) | instid1(SALU_CYCLE_1)
	s_mul_i32 s15, s15, s4
	v_add_lshl_u32 v0, s15, v0, 2
	s_delay_alu instid0(VALU_DEP_1) | instskip(NEXT) | instid1(VALU_DEP_1)
	v_lshlrev_b64 v[8:9], 3, v[0:1]
	v_add_co_u32 v4, vcc_lo, s0, v8
	s_delay_alu instid0(VALU_DEP_2)
	v_add_co_ci_u32_e32 v5, vcc_lo, s1, v9, vcc_lo
	s_clause 0x1
	global_load_b128 v[0:3], v[4:5], off
	global_load_b128 v[4:7], v[4:5], off offset:16
	s_waitcnt vmcnt(1)
	v_add_f64 v[0:1], v[0:1], 0
	s_delay_alu instid0(VALU_DEP_1) | instskip(SKIP_3) | instid1(VALU_DEP_3)
	v_add_f64 v[0:1], v[0:1], v[2:3]
	v_add_co_u32 v2, vcc_lo, s2, v8
	v_add_co_ci_u32_e32 v3, vcc_lo, s3, v9, vcc_lo
	s_waitcnt vmcnt(0)
	v_add_f64 v[0:1], v[0:1], v[4:5]
	s_delay_alu instid0(VALU_DEP_1)
	v_add_f64 v[0:1], v[0:1], v[6:7]
	global_store_b64 v[2:3], v[0:1], off
	s_nop 0
	s_sendmsg sendmsg(MSG_DEALLOC_VGPRS)
	s_endpgm
	.section	.rodata,"a",@progbits
	.p2align	6, 0x0
	.amdhsa_kernel _Z20thread_reduce_kernelIdLi4EEvPT_S1_
		.amdhsa_group_segment_fixed_size 0
		.amdhsa_private_segment_fixed_size 0
		.amdhsa_kernarg_size 272
		.amdhsa_user_sgpr_count 15
		.amdhsa_user_sgpr_dispatch_ptr 0
		.amdhsa_user_sgpr_queue_ptr 0
		.amdhsa_user_sgpr_kernarg_segment_ptr 1
		.amdhsa_user_sgpr_dispatch_id 0
		.amdhsa_user_sgpr_private_segment_size 0
		.amdhsa_wavefront_size32 1
		.amdhsa_uses_dynamic_stack 0
		.amdhsa_enable_private_segment 0
		.amdhsa_system_sgpr_workgroup_id_x 1
		.amdhsa_system_sgpr_workgroup_id_y 0
		.amdhsa_system_sgpr_workgroup_id_z 0
		.amdhsa_system_sgpr_workgroup_info 0
		.amdhsa_system_vgpr_workitem_id 0
		.amdhsa_next_free_vgpr 10
		.amdhsa_next_free_sgpr 16
		.amdhsa_reserve_vcc 1
		.amdhsa_float_round_mode_32 0
		.amdhsa_float_round_mode_16_64 0
		.amdhsa_float_denorm_mode_32 3
		.amdhsa_float_denorm_mode_16_64 3
		.amdhsa_dx10_clamp 1
		.amdhsa_ieee_mode 1
		.amdhsa_fp16_overflow 0
		.amdhsa_workgroup_processor_mode 1
		.amdhsa_memory_ordered 1
		.amdhsa_forward_progress 0
		.amdhsa_shared_vgpr_count 0
		.amdhsa_exception_fp_ieee_invalid_op 0
		.amdhsa_exception_fp_denorm_src 0
		.amdhsa_exception_fp_ieee_div_zero 0
		.amdhsa_exception_fp_ieee_overflow 0
		.amdhsa_exception_fp_ieee_underflow 0
		.amdhsa_exception_fp_ieee_inexact 0
		.amdhsa_exception_int_div_zero 0
	.end_amdhsa_kernel
	.section	.text._Z20thread_reduce_kernelIdLi4EEvPT_S1_,"axG",@progbits,_Z20thread_reduce_kernelIdLi4EEvPT_S1_,comdat
.Lfunc_end39:
	.size	_Z20thread_reduce_kernelIdLi4EEvPT_S1_, .Lfunc_end39-_Z20thread_reduce_kernelIdLi4EEvPT_S1_
                                        ; -- End function
	.section	.AMDGPU.csdata,"",@progbits
; Kernel info:
; codeLenInByte = 180
; NumSgprs: 18
; NumVgprs: 10
; ScratchSize: 0
; MemoryBound: 0
; FloatMode: 240
; IeeeMode: 1
; LDSByteSize: 0 bytes/workgroup (compile time only)
; SGPRBlocks: 2
; VGPRBlocks: 1
; NumSGPRsForWavesPerEU: 18
; NumVGPRsForWavesPerEU: 10
; Occupancy: 16
; WaveLimiterHint : 0
; COMPUTE_PGM_RSRC2:SCRATCH_EN: 0
; COMPUTE_PGM_RSRC2:USER_SGPR: 15
; COMPUTE_PGM_RSRC2:TRAP_HANDLER: 0
; COMPUTE_PGM_RSRC2:TGID_X_EN: 1
; COMPUTE_PGM_RSRC2:TGID_Y_EN: 0
; COMPUTE_PGM_RSRC2:TGID_Z_EN: 0
; COMPUTE_PGM_RSRC2:TIDIG_COMP_CNT: 0
	.section	.text._Z20thread_reduce_kernelIfLi4EEvPT_S1_,"axG",@progbits,_Z20thread_reduce_kernelIfLi4EEvPT_S1_,comdat
	.protected	_Z20thread_reduce_kernelIfLi4EEvPT_S1_ ; -- Begin function _Z20thread_reduce_kernelIfLi4EEvPT_S1_
	.globl	_Z20thread_reduce_kernelIfLi4EEvPT_S1_
	.p2align	8
	.type	_Z20thread_reduce_kernelIfLi4EEvPT_S1_,@function
_Z20thread_reduce_kernelIfLi4EEvPT_S1_: ; @_Z20thread_reduce_kernelIfLi4EEvPT_S1_
; %bb.0:
	s_clause 0x1
	s_load_b32 s4, s[0:1], 0x1c
	s_load_b128 s[0:3], s[0:1], 0x0
	v_mov_b32_e32 v1, 0
	s_waitcnt lgkmcnt(0)
	s_and_b32 s4, s4, 0xffff
	s_delay_alu instid0(SALU_CYCLE_1) | instskip(NEXT) | instid1(SALU_CYCLE_1)
	s_mul_i32 s15, s15, s4
	v_add_lshl_u32 v0, s15, v0, 2
	s_delay_alu instid0(VALU_DEP_1) | instskip(NEXT) | instid1(VALU_DEP_1)
	v_lshlrev_b64 v[4:5], 2, v[0:1]
	v_add_co_u32 v0, vcc_lo, s0, v4
	s_delay_alu instid0(VALU_DEP_2) | instskip(SKIP_3) | instid1(VALU_DEP_1)
	v_add_co_ci_u32_e32 v1, vcc_lo, s1, v5, vcc_lo
	global_load_b128 v[0:3], v[0:1], off
	s_waitcnt vmcnt(0)
	v_add_f32_e32 v0, 0, v0
	v_add_f32_e32 v0, v0, v1
	s_delay_alu instid0(VALU_DEP_1) | instskip(NEXT) | instid1(VALU_DEP_1)
	v_add_f32_e32 v0, v0, v2
	v_add_f32_e32 v2, v0, v3
	v_add_co_u32 v0, vcc_lo, s2, v4
	v_add_co_ci_u32_e32 v1, vcc_lo, s3, v5, vcc_lo
	global_store_b32 v[0:1], v2, off
	s_nop 0
	s_sendmsg sendmsg(MSG_DEALLOC_VGPRS)
	s_endpgm
	.section	.rodata,"a",@progbits
	.p2align	6, 0x0
	.amdhsa_kernel _Z20thread_reduce_kernelIfLi4EEvPT_S1_
		.amdhsa_group_segment_fixed_size 0
		.amdhsa_private_segment_fixed_size 0
		.amdhsa_kernarg_size 272
		.amdhsa_user_sgpr_count 15
		.amdhsa_user_sgpr_dispatch_ptr 0
		.amdhsa_user_sgpr_queue_ptr 0
		.amdhsa_user_sgpr_kernarg_segment_ptr 1
		.amdhsa_user_sgpr_dispatch_id 0
		.amdhsa_user_sgpr_private_segment_size 0
		.amdhsa_wavefront_size32 1
		.amdhsa_uses_dynamic_stack 0
		.amdhsa_enable_private_segment 0
		.amdhsa_system_sgpr_workgroup_id_x 1
		.amdhsa_system_sgpr_workgroup_id_y 0
		.amdhsa_system_sgpr_workgroup_id_z 0
		.amdhsa_system_sgpr_workgroup_info 0
		.amdhsa_system_vgpr_workitem_id 0
		.amdhsa_next_free_vgpr 6
		.amdhsa_next_free_sgpr 16
		.amdhsa_reserve_vcc 1
		.amdhsa_float_round_mode_32 0
		.amdhsa_float_round_mode_16_64 0
		.amdhsa_float_denorm_mode_32 3
		.amdhsa_float_denorm_mode_16_64 3
		.amdhsa_dx10_clamp 1
		.amdhsa_ieee_mode 1
		.amdhsa_fp16_overflow 0
		.amdhsa_workgroup_processor_mode 1
		.amdhsa_memory_ordered 1
		.amdhsa_forward_progress 0
		.amdhsa_shared_vgpr_count 0
		.amdhsa_exception_fp_ieee_invalid_op 0
		.amdhsa_exception_fp_denorm_src 0
		.amdhsa_exception_fp_ieee_div_zero 0
		.amdhsa_exception_fp_ieee_overflow 0
		.amdhsa_exception_fp_ieee_underflow 0
		.amdhsa_exception_fp_ieee_inexact 0
		.amdhsa_exception_int_div_zero 0
	.end_amdhsa_kernel
	.section	.text._Z20thread_reduce_kernelIfLi4EEvPT_S1_,"axG",@progbits,_Z20thread_reduce_kernelIfLi4EEvPT_S1_,comdat
.Lfunc_end40:
	.size	_Z20thread_reduce_kernelIfLi4EEvPT_S1_, .Lfunc_end40-_Z20thread_reduce_kernelIfLi4EEvPT_S1_
                                        ; -- End function
	.section	.AMDGPU.csdata,"",@progbits
; Kernel info:
; codeLenInByte = 144
; NumSgprs: 18
; NumVgprs: 6
; ScratchSize: 0
; MemoryBound: 0
; FloatMode: 240
; IeeeMode: 1
; LDSByteSize: 0 bytes/workgroup (compile time only)
; SGPRBlocks: 2
; VGPRBlocks: 0
; NumSGPRsForWavesPerEU: 18
; NumVGPRsForWavesPerEU: 6
; Occupancy: 16
; WaveLimiterHint : 0
; COMPUTE_PGM_RSRC2:SCRATCH_EN: 0
; COMPUTE_PGM_RSRC2:USER_SGPR: 15
; COMPUTE_PGM_RSRC2:TRAP_HANDLER: 0
; COMPUTE_PGM_RSRC2:TGID_X_EN: 1
; COMPUTE_PGM_RSRC2:TGID_Y_EN: 0
; COMPUTE_PGM_RSRC2:TGID_Z_EN: 0
; COMPUTE_PGM_RSRC2:TIDIG_COMP_CNT: 0
	.section	.text._Z20thread_reduce_kernelI12hip_bfloat16Li4EEvPT_S2_,"axG",@progbits,_Z20thread_reduce_kernelI12hip_bfloat16Li4EEvPT_S2_,comdat
	.protected	_Z20thread_reduce_kernelI12hip_bfloat16Li4EEvPT_S2_ ; -- Begin function _Z20thread_reduce_kernelI12hip_bfloat16Li4EEvPT_S2_
	.globl	_Z20thread_reduce_kernelI12hip_bfloat16Li4EEvPT_S2_
	.p2align	8
	.type	_Z20thread_reduce_kernelI12hip_bfloat16Li4EEvPT_S2_,@function
_Z20thread_reduce_kernelI12hip_bfloat16Li4EEvPT_S2_: ; @_Z20thread_reduce_kernelI12hip_bfloat16Li4EEvPT_S2_
; %bb.0:
	s_clause 0x1
	s_load_b32 s4, s[0:1], 0x1c
	s_load_b128 s[0:3], s[0:1], 0x0
	v_mov_b32_e32 v1, 0
	s_waitcnt lgkmcnt(0)
	s_and_b32 s4, s4, 0xffff
	s_delay_alu instid0(SALU_CYCLE_1) | instskip(NEXT) | instid1(SALU_CYCLE_1)
	s_mul_i32 s15, s15, s4
	v_add_lshl_u32 v0, s15, v0, 2
	s_delay_alu instid0(VALU_DEP_1) | instskip(NEXT) | instid1(VALU_DEP_1)
	v_lshlrev_b64 v[0:1], 1, v[0:1]
	v_add_co_u32 v2, vcc_lo, s0, v0
	s_delay_alu instid0(VALU_DEP_2) | instskip(SKIP_3) | instid1(VALU_DEP_1)
	v_add_co_ci_u32_e32 v3, vcc_lo, s1, v1, vcc_lo
	global_load_u16 v4, v[2:3], off
	s_waitcnt vmcnt(0)
	v_lshlrev_b32_e32 v4, 16, v4
	v_add_f32_e32 v4, 0, v4
	s_delay_alu instid0(VALU_DEP_1) | instskip(NEXT) | instid1(VALU_DEP_1)
	v_and_b32_e32 v5, 0x7f800000, v4
	v_cmp_ne_u32_e32 vcc_lo, 0x7f800000, v5
                                        ; implicit-def: $vgpr5
	s_and_saveexec_b32 s0, vcc_lo
	s_delay_alu instid0(SALU_CYCLE_1)
	s_xor_b32 s0, exec_lo, s0
; %bb.1:
	v_bfe_u32 v5, v4, 16, 1
	s_delay_alu instid0(VALU_DEP_1)
	v_add3_u32 v5, v4, v5, 0x7fff
                                        ; implicit-def: $vgpr4
; %bb.2:
	s_and_not1_saveexec_b32 s0, s0
; %bb.3:
	v_and_b32_e32 v5, 0xffff, v4
	v_or_b32_e32 v6, 0x10000, v4
	s_delay_alu instid0(VALU_DEP_2) | instskip(NEXT) | instid1(VALU_DEP_2)
	v_cmp_eq_u32_e32 vcc_lo, 0, v5
	v_cndmask_b32_e32 v5, v6, v4, vcc_lo
; %bb.4:
	s_or_b32 exec_lo, exec_lo, s0
	global_load_u16 v4, v[2:3], off offset:2
	v_and_b32_e32 v5, 0xffff0000, v5
	s_waitcnt vmcnt(0)
	v_lshlrev_b32_e32 v4, 16, v4
	s_delay_alu instid0(VALU_DEP_1) | instskip(NEXT) | instid1(VALU_DEP_1)
	v_add_f32_e32 v4, v5, v4
	v_and_b32_e32 v5, 0x7f800000, v4
	s_delay_alu instid0(VALU_DEP_1) | instskip(SKIP_1) | instid1(SALU_CYCLE_1)
	v_cmp_ne_u32_e32 vcc_lo, 0x7f800000, v5
                                        ; implicit-def: $vgpr5
	s_and_saveexec_b32 s0, vcc_lo
	s_xor_b32 s0, exec_lo, s0
; %bb.5:
	v_bfe_u32 v5, v4, 16, 1
	s_delay_alu instid0(VALU_DEP_1)
	v_add3_u32 v5, v4, v5, 0x7fff
                                        ; implicit-def: $vgpr4
; %bb.6:
	s_and_not1_saveexec_b32 s0, s0
; %bb.7:
	v_and_b32_e32 v5, 0xffff, v4
	v_or_b32_e32 v6, 0x10000, v4
	s_delay_alu instid0(VALU_DEP_2) | instskip(NEXT) | instid1(VALU_DEP_2)
	v_cmp_eq_u32_e32 vcc_lo, 0, v5
	v_cndmask_b32_e32 v5, v6, v4, vcc_lo
; %bb.8:
	s_or_b32 exec_lo, exec_lo, s0
	global_load_u16 v4, v[2:3], off offset:4
	v_and_b32_e32 v5, 0xffff0000, v5
	s_waitcnt vmcnt(0)
	v_lshlrev_b32_e32 v4, 16, v4
	s_delay_alu instid0(VALU_DEP_1) | instskip(NEXT) | instid1(VALU_DEP_1)
	v_add_f32_e32 v4, v5, v4
	v_and_b32_e32 v5, 0x7f800000, v4
	s_delay_alu instid0(VALU_DEP_1) | instskip(SKIP_1) | instid1(SALU_CYCLE_1)
	v_cmp_ne_u32_e32 vcc_lo, 0x7f800000, v5
                                        ; implicit-def: $vgpr5
	s_and_saveexec_b32 s0, vcc_lo
	s_xor_b32 s0, exec_lo, s0
; %bb.9:
	v_bfe_u32 v5, v4, 16, 1
	s_delay_alu instid0(VALU_DEP_1)
	v_add3_u32 v5, v4, v5, 0x7fff
                                        ; implicit-def: $vgpr4
; %bb.10:
	s_and_not1_saveexec_b32 s0, s0
; %bb.11:
	v_and_b32_e32 v5, 0xffff, v4
	v_or_b32_e32 v6, 0x10000, v4
	s_delay_alu instid0(VALU_DEP_2) | instskip(NEXT) | instid1(VALU_DEP_2)
	v_cmp_eq_u32_e32 vcc_lo, 0, v5
	v_cndmask_b32_e32 v5, v6, v4, vcc_lo
; %bb.12:
	s_or_b32 exec_lo, exec_lo, s0
	global_load_u16 v2, v[2:3], off offset:6
	v_and_b32_e32 v3, 0xffff0000, v5
	s_waitcnt vmcnt(0)
	v_lshlrev_b32_e32 v2, 16, v2
	s_delay_alu instid0(VALU_DEP_1) | instskip(NEXT) | instid1(VALU_DEP_1)
	v_add_f32_e32 v3, v3, v2
	v_and_b32_e32 v2, 0x7f800000, v3
	s_delay_alu instid0(VALU_DEP_1) | instskip(SKIP_1) | instid1(SALU_CYCLE_1)
	v_cmp_ne_u32_e32 vcc_lo, 0x7f800000, v2
                                        ; implicit-def: $vgpr2
	s_and_saveexec_b32 s0, vcc_lo
	s_xor_b32 s0, exec_lo, s0
; %bb.13:
	v_bfe_u32 v2, v3, 16, 1
	s_delay_alu instid0(VALU_DEP_1)
	v_add3_u32 v2, v3, v2, 0x7fff
                                        ; implicit-def: $vgpr3
; %bb.14:
	s_and_not1_saveexec_b32 s0, s0
; %bb.15:
	v_and_b32_e32 v2, 0xffff, v3
	v_or_b32_e32 v4, 0x10000, v3
	s_delay_alu instid0(VALU_DEP_2) | instskip(NEXT) | instid1(VALU_DEP_2)
	v_cmp_eq_u32_e32 vcc_lo, 0, v2
	v_cndmask_b32_e32 v2, v4, v3, vcc_lo
; %bb.16:
	s_or_b32 exec_lo, exec_lo, s0
	v_add_co_u32 v0, vcc_lo, s2, v0
	v_add_co_ci_u32_e32 v1, vcc_lo, s3, v1, vcc_lo
	global_store_d16_hi_b16 v[0:1], v2, off
	s_nop 0
	s_sendmsg sendmsg(MSG_DEALLOC_VGPRS)
	s_endpgm
	.section	.rodata,"a",@progbits
	.p2align	6, 0x0
	.amdhsa_kernel _Z20thread_reduce_kernelI12hip_bfloat16Li4EEvPT_S2_
		.amdhsa_group_segment_fixed_size 0
		.amdhsa_private_segment_fixed_size 0
		.amdhsa_kernarg_size 272
		.amdhsa_user_sgpr_count 15
		.amdhsa_user_sgpr_dispatch_ptr 0
		.amdhsa_user_sgpr_queue_ptr 0
		.amdhsa_user_sgpr_kernarg_segment_ptr 1
		.amdhsa_user_sgpr_dispatch_id 0
		.amdhsa_user_sgpr_private_segment_size 0
		.amdhsa_wavefront_size32 1
		.amdhsa_uses_dynamic_stack 0
		.amdhsa_enable_private_segment 0
		.amdhsa_system_sgpr_workgroup_id_x 1
		.amdhsa_system_sgpr_workgroup_id_y 0
		.amdhsa_system_sgpr_workgroup_id_z 0
		.amdhsa_system_sgpr_workgroup_info 0
		.amdhsa_system_vgpr_workitem_id 0
		.amdhsa_next_free_vgpr 7
		.amdhsa_next_free_sgpr 16
		.amdhsa_reserve_vcc 1
		.amdhsa_float_round_mode_32 0
		.amdhsa_float_round_mode_16_64 0
		.amdhsa_float_denorm_mode_32 3
		.amdhsa_float_denorm_mode_16_64 3
		.amdhsa_dx10_clamp 1
		.amdhsa_ieee_mode 1
		.amdhsa_fp16_overflow 0
		.amdhsa_workgroup_processor_mode 1
		.amdhsa_memory_ordered 1
		.amdhsa_forward_progress 0
		.amdhsa_shared_vgpr_count 0
		.amdhsa_exception_fp_ieee_invalid_op 0
		.amdhsa_exception_fp_denorm_src 0
		.amdhsa_exception_fp_ieee_div_zero 0
		.amdhsa_exception_fp_ieee_overflow 0
		.amdhsa_exception_fp_ieee_underflow 0
		.amdhsa_exception_fp_ieee_inexact 0
		.amdhsa_exception_int_div_zero 0
	.end_amdhsa_kernel
	.section	.text._Z20thread_reduce_kernelI12hip_bfloat16Li4EEvPT_S2_,"axG",@progbits,_Z20thread_reduce_kernelI12hip_bfloat16Li4EEvPT_S2_,comdat
.Lfunc_end41:
	.size	_Z20thread_reduce_kernelI12hip_bfloat16Li4EEvPT_S2_, .Lfunc_end41-_Z20thread_reduce_kernelI12hip_bfloat16Li4EEvPT_S2_
                                        ; -- End function
	.section	.AMDGPU.csdata,"",@progbits
; Kernel info:
; codeLenInByte = 584
; NumSgprs: 18
; NumVgprs: 7
; ScratchSize: 0
; MemoryBound: 0
; FloatMode: 240
; IeeeMode: 1
; LDSByteSize: 0 bytes/workgroup (compile time only)
; SGPRBlocks: 2
; VGPRBlocks: 0
; NumSGPRsForWavesPerEU: 18
; NumVGPRsForWavesPerEU: 7
; Occupancy: 16
; WaveLimiterHint : 0
; COMPUTE_PGM_RSRC2:SCRATCH_EN: 0
; COMPUTE_PGM_RSRC2:USER_SGPR: 15
; COMPUTE_PGM_RSRC2:TRAP_HANDLER: 0
; COMPUTE_PGM_RSRC2:TGID_X_EN: 1
; COMPUTE_PGM_RSRC2:TGID_Y_EN: 0
; COMPUTE_PGM_RSRC2:TGID_Z_EN: 0
; COMPUTE_PGM_RSRC2:TIDIG_COMP_CNT: 0
	.section	.text._Z20thread_reduce_kernelI6__halfLi4EEvPT_S2_,"axG",@progbits,_Z20thread_reduce_kernelI6__halfLi4EEvPT_S2_,comdat
	.protected	_Z20thread_reduce_kernelI6__halfLi4EEvPT_S2_ ; -- Begin function _Z20thread_reduce_kernelI6__halfLi4EEvPT_S2_
	.globl	_Z20thread_reduce_kernelI6__halfLi4EEvPT_S2_
	.p2align	8
	.type	_Z20thread_reduce_kernelI6__halfLi4EEvPT_S2_,@function
_Z20thread_reduce_kernelI6__halfLi4EEvPT_S2_: ; @_Z20thread_reduce_kernelI6__halfLi4EEvPT_S2_
; %bb.0:
	s_clause 0x1
	s_load_b32 s4, s[0:1], 0x1c
	s_load_b128 s[0:3], s[0:1], 0x0
	v_mov_b32_e32 v1, 0
	s_waitcnt lgkmcnt(0)
	s_and_b32 s4, s4, 0xffff
	s_delay_alu instid0(SALU_CYCLE_1) | instskip(NEXT) | instid1(SALU_CYCLE_1)
	s_mul_i32 s15, s15, s4
	v_add_lshl_u32 v0, s15, v0, 2
	s_delay_alu instid0(VALU_DEP_1) | instskip(NEXT) | instid1(VALU_DEP_1)
	v_lshlrev_b64 v[0:1], 1, v[0:1]
	v_add_co_u32 v2, vcc_lo, s0, v0
	s_delay_alu instid0(VALU_DEP_2)
	v_add_co_ci_u32_e32 v3, vcc_lo, s1, v1, vcc_lo
	v_add_co_u32 v0, vcc_lo, s2, v0
	v_add_co_ci_u32_e32 v1, vcc_lo, s3, v1, vcc_lo
	global_load_b64 v[2:3], v[2:3], off
	s_waitcnt vmcnt(0)
	v_lshrrev_b32_e32 v4, 16, v2
	v_add_f16_e32 v2, 0, v2
	s_delay_alu instid0(VALU_DEP_1) | instskip(SKIP_1) | instid1(VALU_DEP_2)
	v_add_f16_e32 v2, v2, v4
	v_lshrrev_b32_e32 v4, 16, v3
	v_add_f16_e32 v2, v2, v3
	s_delay_alu instid0(VALU_DEP_1)
	v_add_f16_e32 v2, v2, v4
	global_store_b16 v[0:1], v2, off
	s_nop 0
	s_sendmsg sendmsg(MSG_DEALLOC_VGPRS)
	s_endpgm
	.section	.rodata,"a",@progbits
	.p2align	6, 0x0
	.amdhsa_kernel _Z20thread_reduce_kernelI6__halfLi4EEvPT_S2_
		.amdhsa_group_segment_fixed_size 0
		.amdhsa_private_segment_fixed_size 0
		.amdhsa_kernarg_size 272
		.amdhsa_user_sgpr_count 15
		.amdhsa_user_sgpr_dispatch_ptr 0
		.amdhsa_user_sgpr_queue_ptr 0
		.amdhsa_user_sgpr_kernarg_segment_ptr 1
		.amdhsa_user_sgpr_dispatch_id 0
		.amdhsa_user_sgpr_private_segment_size 0
		.amdhsa_wavefront_size32 1
		.amdhsa_uses_dynamic_stack 0
		.amdhsa_enable_private_segment 0
		.amdhsa_system_sgpr_workgroup_id_x 1
		.amdhsa_system_sgpr_workgroup_id_y 0
		.amdhsa_system_sgpr_workgroup_id_z 0
		.amdhsa_system_sgpr_workgroup_info 0
		.amdhsa_system_vgpr_workitem_id 0
		.amdhsa_next_free_vgpr 5
		.amdhsa_next_free_sgpr 16
		.amdhsa_reserve_vcc 1
		.amdhsa_float_round_mode_32 0
		.amdhsa_float_round_mode_16_64 0
		.amdhsa_float_denorm_mode_32 3
		.amdhsa_float_denorm_mode_16_64 3
		.amdhsa_dx10_clamp 1
		.amdhsa_ieee_mode 1
		.amdhsa_fp16_overflow 0
		.amdhsa_workgroup_processor_mode 1
		.amdhsa_memory_ordered 1
		.amdhsa_forward_progress 0
		.amdhsa_shared_vgpr_count 0
		.amdhsa_exception_fp_ieee_invalid_op 0
		.amdhsa_exception_fp_denorm_src 0
		.amdhsa_exception_fp_ieee_div_zero 0
		.amdhsa_exception_fp_ieee_overflow 0
		.amdhsa_exception_fp_ieee_underflow 0
		.amdhsa_exception_fp_ieee_inexact 0
		.amdhsa_exception_int_div_zero 0
	.end_amdhsa_kernel
	.section	.text._Z20thread_reduce_kernelI6__halfLi4EEvPT_S2_,"axG",@progbits,_Z20thread_reduce_kernelI6__halfLi4EEvPT_S2_,comdat
.Lfunc_end42:
	.size	_Z20thread_reduce_kernelI6__halfLi4EEvPT_S2_, .Lfunc_end42-_Z20thread_reduce_kernelI6__halfLi4EEvPT_S2_
                                        ; -- End function
	.section	.AMDGPU.csdata,"",@progbits
; Kernel info:
; codeLenInByte = 156
; NumSgprs: 18
; NumVgprs: 5
; ScratchSize: 0
; MemoryBound: 0
; FloatMode: 240
; IeeeMode: 1
; LDSByteSize: 0 bytes/workgroup (compile time only)
; SGPRBlocks: 2
; VGPRBlocks: 0
; NumSGPRsForWavesPerEU: 18
; NumVGPRsForWavesPerEU: 5
; Occupancy: 16
; WaveLimiterHint : 0
; COMPUTE_PGM_RSRC2:SCRATCH_EN: 0
; COMPUTE_PGM_RSRC2:USER_SGPR: 15
; COMPUTE_PGM_RSRC2:TRAP_HANDLER: 0
; COMPUTE_PGM_RSRC2:TGID_X_EN: 1
; COMPUTE_PGM_RSRC2:TGID_Y_EN: 0
; COMPUTE_PGM_RSRC2:TGID_Z_EN: 0
; COMPUTE_PGM_RSRC2:TIDIG_COMP_CNT: 0
	.section	.text._Z20thread_reduce_kernelIiLi4EEvPT_S1_,"axG",@progbits,_Z20thread_reduce_kernelIiLi4EEvPT_S1_,comdat
	.protected	_Z20thread_reduce_kernelIiLi4EEvPT_S1_ ; -- Begin function _Z20thread_reduce_kernelIiLi4EEvPT_S1_
	.globl	_Z20thread_reduce_kernelIiLi4EEvPT_S1_
	.p2align	8
	.type	_Z20thread_reduce_kernelIiLi4EEvPT_S1_,@function
_Z20thread_reduce_kernelIiLi4EEvPT_S1_: ; @_Z20thread_reduce_kernelIiLi4EEvPT_S1_
; %bb.0:
	s_clause 0x1
	s_load_b32 s4, s[0:1], 0x1c
	s_load_b128 s[0:3], s[0:1], 0x0
	v_mov_b32_e32 v1, 0
	s_waitcnt lgkmcnt(0)
	s_and_b32 s4, s4, 0xffff
	s_delay_alu instid0(SALU_CYCLE_1) | instskip(NEXT) | instid1(SALU_CYCLE_1)
	s_mul_i32 s15, s15, s4
	v_add_lshl_u32 v0, s15, v0, 2
	s_delay_alu instid0(VALU_DEP_1) | instskip(NEXT) | instid1(VALU_DEP_1)
	v_lshlrev_b64 v[4:5], 2, v[0:1]
	v_add_co_u32 v0, vcc_lo, s0, v4
	s_delay_alu instid0(VALU_DEP_2) | instskip(SKIP_3) | instid1(VALU_DEP_1)
	v_add_co_ci_u32_e32 v1, vcc_lo, s1, v5, vcc_lo
	global_load_b128 v[0:3], v[0:1], off
	s_waitcnt vmcnt(0)
	v_add_nc_u32_e32 v0, v1, v0
	v_add3_u32 v2, v0, v2, v3
	v_add_co_u32 v0, vcc_lo, s2, v4
	v_add_co_ci_u32_e32 v1, vcc_lo, s3, v5, vcc_lo
	global_store_b32 v[0:1], v2, off
	s_nop 0
	s_sendmsg sendmsg(MSG_DEALLOC_VGPRS)
	s_endpgm
	.section	.rodata,"a",@progbits
	.p2align	6, 0x0
	.amdhsa_kernel _Z20thread_reduce_kernelIiLi4EEvPT_S1_
		.amdhsa_group_segment_fixed_size 0
		.amdhsa_private_segment_fixed_size 0
		.amdhsa_kernarg_size 272
		.amdhsa_user_sgpr_count 15
		.amdhsa_user_sgpr_dispatch_ptr 0
		.amdhsa_user_sgpr_queue_ptr 0
		.amdhsa_user_sgpr_kernarg_segment_ptr 1
		.amdhsa_user_sgpr_dispatch_id 0
		.amdhsa_user_sgpr_private_segment_size 0
		.amdhsa_wavefront_size32 1
		.amdhsa_uses_dynamic_stack 0
		.amdhsa_enable_private_segment 0
		.amdhsa_system_sgpr_workgroup_id_x 1
		.amdhsa_system_sgpr_workgroup_id_y 0
		.amdhsa_system_sgpr_workgroup_id_z 0
		.amdhsa_system_sgpr_workgroup_info 0
		.amdhsa_system_vgpr_workitem_id 0
		.amdhsa_next_free_vgpr 6
		.amdhsa_next_free_sgpr 16
		.amdhsa_reserve_vcc 1
		.amdhsa_float_round_mode_32 0
		.amdhsa_float_round_mode_16_64 0
		.amdhsa_float_denorm_mode_32 3
		.amdhsa_float_denorm_mode_16_64 3
		.amdhsa_dx10_clamp 1
		.amdhsa_ieee_mode 1
		.amdhsa_fp16_overflow 0
		.amdhsa_workgroup_processor_mode 1
		.amdhsa_memory_ordered 1
		.amdhsa_forward_progress 0
		.amdhsa_shared_vgpr_count 0
		.amdhsa_exception_fp_ieee_invalid_op 0
		.amdhsa_exception_fp_denorm_src 0
		.amdhsa_exception_fp_ieee_div_zero 0
		.amdhsa_exception_fp_ieee_overflow 0
		.amdhsa_exception_fp_ieee_underflow 0
		.amdhsa_exception_fp_ieee_inexact 0
		.amdhsa_exception_int_div_zero 0
	.end_amdhsa_kernel
	.section	.text._Z20thread_reduce_kernelIiLi4EEvPT_S1_,"axG",@progbits,_Z20thread_reduce_kernelIiLi4EEvPT_S1_,comdat
.Lfunc_end43:
	.size	_Z20thread_reduce_kernelIiLi4EEvPT_S1_, .Lfunc_end43-_Z20thread_reduce_kernelIiLi4EEvPT_S1_
                                        ; -- End function
	.section	.AMDGPU.csdata,"",@progbits
; Kernel info:
; codeLenInByte = 136
; NumSgprs: 18
; NumVgprs: 6
; ScratchSize: 0
; MemoryBound: 0
; FloatMode: 240
; IeeeMode: 1
; LDSByteSize: 0 bytes/workgroup (compile time only)
; SGPRBlocks: 2
; VGPRBlocks: 0
; NumSGPRsForWavesPerEU: 18
; NumVGPRsForWavesPerEU: 6
; Occupancy: 16
; WaveLimiterHint : 0
; COMPUTE_PGM_RSRC2:SCRATCH_EN: 0
; COMPUTE_PGM_RSRC2:USER_SGPR: 15
; COMPUTE_PGM_RSRC2:TRAP_HANDLER: 0
; COMPUTE_PGM_RSRC2:TGID_X_EN: 1
; COMPUTE_PGM_RSRC2:TGID_Y_EN: 0
; COMPUTE_PGM_RSRC2:TGID_Z_EN: 0
; COMPUTE_PGM_RSRC2:TIDIG_COMP_CNT: 0
	.section	.text._Z20thread_reduce_kernelImLi4EEvPT_S1_,"axG",@progbits,_Z20thread_reduce_kernelImLi4EEvPT_S1_,comdat
	.protected	_Z20thread_reduce_kernelImLi4EEvPT_S1_ ; -- Begin function _Z20thread_reduce_kernelImLi4EEvPT_S1_
	.globl	_Z20thread_reduce_kernelImLi4EEvPT_S1_
	.p2align	8
	.type	_Z20thread_reduce_kernelImLi4EEvPT_S1_,@function
_Z20thread_reduce_kernelImLi4EEvPT_S1_: ; @_Z20thread_reduce_kernelImLi4EEvPT_S1_
; %bb.0:
	s_clause 0x1
	s_load_b32 s4, s[0:1], 0x1c
	s_load_b128 s[0:3], s[0:1], 0x0
	v_mov_b32_e32 v1, 0
	s_waitcnt lgkmcnt(0)
	s_and_b32 s4, s4, 0xffff
	s_delay_alu instid0(SALU_CYCLE_1) | instskip(NEXT) | instid1(SALU_CYCLE_1)
	s_mul_i32 s15, s15, s4
	v_add_lshl_u32 v0, s15, v0, 2
	s_delay_alu instid0(VALU_DEP_1) | instskip(NEXT) | instid1(VALU_DEP_1)
	v_lshlrev_b64 v[8:9], 3, v[0:1]
	v_add_co_u32 v4, vcc_lo, s0, v8
	s_delay_alu instid0(VALU_DEP_2)
	v_add_co_ci_u32_e32 v5, vcc_lo, s1, v9, vcc_lo
	s_clause 0x1
	global_load_b128 v[0:3], v[4:5], off
	global_load_b128 v[4:7], v[4:5], off offset:16
	s_waitcnt vmcnt(1)
	v_add_co_u32 v0, vcc_lo, v2, v0
	v_add_co_ci_u32_e32 v1, vcc_lo, v3, v1, vcc_lo
	s_waitcnt vmcnt(0)
	s_delay_alu instid0(VALU_DEP_2) | instskip(NEXT) | instid1(VALU_DEP_2)
	v_add_co_u32 v0, vcc_lo, v0, v4
	v_add_co_ci_u32_e32 v1, vcc_lo, v1, v5, vcc_lo
	s_delay_alu instid0(VALU_DEP_2) | instskip(NEXT) | instid1(VALU_DEP_2)
	v_add_co_u32 v0, vcc_lo, v0, v6
	v_add_co_ci_u32_e32 v1, vcc_lo, v1, v7, vcc_lo
	v_add_co_u32 v2, vcc_lo, s2, v8
	v_add_co_ci_u32_e32 v3, vcc_lo, s3, v9, vcc_lo
	global_store_b64 v[2:3], v[0:1], off
	s_nop 0
	s_sendmsg sendmsg(MSG_DEALLOC_VGPRS)
	s_endpgm
	.section	.rodata,"a",@progbits
	.p2align	6, 0x0
	.amdhsa_kernel _Z20thread_reduce_kernelImLi4EEvPT_S1_
		.amdhsa_group_segment_fixed_size 0
		.amdhsa_private_segment_fixed_size 0
		.amdhsa_kernarg_size 272
		.amdhsa_user_sgpr_count 15
		.amdhsa_user_sgpr_dispatch_ptr 0
		.amdhsa_user_sgpr_queue_ptr 0
		.amdhsa_user_sgpr_kernarg_segment_ptr 1
		.amdhsa_user_sgpr_dispatch_id 0
		.amdhsa_user_sgpr_private_segment_size 0
		.amdhsa_wavefront_size32 1
		.amdhsa_uses_dynamic_stack 0
		.amdhsa_enable_private_segment 0
		.amdhsa_system_sgpr_workgroup_id_x 1
		.amdhsa_system_sgpr_workgroup_id_y 0
		.amdhsa_system_sgpr_workgroup_id_z 0
		.amdhsa_system_sgpr_workgroup_info 0
		.amdhsa_system_vgpr_workitem_id 0
		.amdhsa_next_free_vgpr 10
		.amdhsa_next_free_sgpr 16
		.amdhsa_reserve_vcc 1
		.amdhsa_float_round_mode_32 0
		.amdhsa_float_round_mode_16_64 0
		.amdhsa_float_denorm_mode_32 3
		.amdhsa_float_denorm_mode_16_64 3
		.amdhsa_dx10_clamp 1
		.amdhsa_ieee_mode 1
		.amdhsa_fp16_overflow 0
		.amdhsa_workgroup_processor_mode 1
		.amdhsa_memory_ordered 1
		.amdhsa_forward_progress 0
		.amdhsa_shared_vgpr_count 0
		.amdhsa_exception_fp_ieee_invalid_op 0
		.amdhsa_exception_fp_denorm_src 0
		.amdhsa_exception_fp_ieee_div_zero 0
		.amdhsa_exception_fp_ieee_overflow 0
		.amdhsa_exception_fp_ieee_underflow 0
		.amdhsa_exception_fp_ieee_inexact 0
		.amdhsa_exception_int_div_zero 0
	.end_amdhsa_kernel
	.section	.text._Z20thread_reduce_kernelImLi4EEvPT_S1_,"axG",@progbits,_Z20thread_reduce_kernelImLi4EEvPT_S1_,comdat
.Lfunc_end44:
	.size	_Z20thread_reduce_kernelImLi4EEvPT_S1_, .Lfunc_end44-_Z20thread_reduce_kernelImLi4EEvPT_S1_
                                        ; -- End function
	.section	.AMDGPU.csdata,"",@progbits
; Kernel info:
; codeLenInByte = 184
; NumSgprs: 18
; NumVgprs: 10
; ScratchSize: 0
; MemoryBound: 0
; FloatMode: 240
; IeeeMode: 1
; LDSByteSize: 0 bytes/workgroup (compile time only)
; SGPRBlocks: 2
; VGPRBlocks: 1
; NumSGPRsForWavesPerEU: 18
; NumVGPRsForWavesPerEU: 10
; Occupancy: 16
; WaveLimiterHint : 0
; COMPUTE_PGM_RSRC2:SCRATCH_EN: 0
; COMPUTE_PGM_RSRC2:USER_SGPR: 15
; COMPUTE_PGM_RSRC2:TRAP_HANDLER: 0
; COMPUTE_PGM_RSRC2:TGID_X_EN: 1
; COMPUTE_PGM_RSRC2:TGID_Y_EN: 0
; COMPUTE_PGM_RSRC2:TGID_Z_EN: 0
; COMPUTE_PGM_RSRC2:TIDIG_COMP_CNT: 0
	.section	.text._Z20thread_reduce_kernelIjLi4EEvPT_S1_,"axG",@progbits,_Z20thread_reduce_kernelIjLi4EEvPT_S1_,comdat
	.protected	_Z20thread_reduce_kernelIjLi4EEvPT_S1_ ; -- Begin function _Z20thread_reduce_kernelIjLi4EEvPT_S1_
	.globl	_Z20thread_reduce_kernelIjLi4EEvPT_S1_
	.p2align	8
	.type	_Z20thread_reduce_kernelIjLi4EEvPT_S1_,@function
_Z20thread_reduce_kernelIjLi4EEvPT_S1_: ; @_Z20thread_reduce_kernelIjLi4EEvPT_S1_
; %bb.0:
	s_clause 0x1
	s_load_b32 s4, s[0:1], 0x1c
	s_load_b128 s[0:3], s[0:1], 0x0
	v_mov_b32_e32 v1, 0
	s_waitcnt lgkmcnt(0)
	s_and_b32 s4, s4, 0xffff
	s_delay_alu instid0(SALU_CYCLE_1) | instskip(NEXT) | instid1(SALU_CYCLE_1)
	s_mul_i32 s15, s15, s4
	v_add_lshl_u32 v0, s15, v0, 2
	s_delay_alu instid0(VALU_DEP_1) | instskip(NEXT) | instid1(VALU_DEP_1)
	v_lshlrev_b64 v[4:5], 2, v[0:1]
	v_add_co_u32 v0, vcc_lo, s0, v4
	s_delay_alu instid0(VALU_DEP_2) | instskip(SKIP_3) | instid1(VALU_DEP_1)
	v_add_co_ci_u32_e32 v1, vcc_lo, s1, v5, vcc_lo
	global_load_b128 v[0:3], v[0:1], off
	s_waitcnt vmcnt(0)
	v_add_nc_u32_e32 v0, v1, v0
	v_add3_u32 v2, v0, v2, v3
	v_add_co_u32 v0, vcc_lo, s2, v4
	v_add_co_ci_u32_e32 v1, vcc_lo, s3, v5, vcc_lo
	global_store_b32 v[0:1], v2, off
	s_nop 0
	s_sendmsg sendmsg(MSG_DEALLOC_VGPRS)
	s_endpgm
	.section	.rodata,"a",@progbits
	.p2align	6, 0x0
	.amdhsa_kernel _Z20thread_reduce_kernelIjLi4EEvPT_S1_
		.amdhsa_group_segment_fixed_size 0
		.amdhsa_private_segment_fixed_size 0
		.amdhsa_kernarg_size 272
		.amdhsa_user_sgpr_count 15
		.amdhsa_user_sgpr_dispatch_ptr 0
		.amdhsa_user_sgpr_queue_ptr 0
		.amdhsa_user_sgpr_kernarg_segment_ptr 1
		.amdhsa_user_sgpr_dispatch_id 0
		.amdhsa_user_sgpr_private_segment_size 0
		.amdhsa_wavefront_size32 1
		.amdhsa_uses_dynamic_stack 0
		.amdhsa_enable_private_segment 0
		.amdhsa_system_sgpr_workgroup_id_x 1
		.amdhsa_system_sgpr_workgroup_id_y 0
		.amdhsa_system_sgpr_workgroup_id_z 0
		.amdhsa_system_sgpr_workgroup_info 0
		.amdhsa_system_vgpr_workitem_id 0
		.amdhsa_next_free_vgpr 6
		.amdhsa_next_free_sgpr 16
		.amdhsa_reserve_vcc 1
		.amdhsa_float_round_mode_32 0
		.amdhsa_float_round_mode_16_64 0
		.amdhsa_float_denorm_mode_32 3
		.amdhsa_float_denorm_mode_16_64 3
		.amdhsa_dx10_clamp 1
		.amdhsa_ieee_mode 1
		.amdhsa_fp16_overflow 0
		.amdhsa_workgroup_processor_mode 1
		.amdhsa_memory_ordered 1
		.amdhsa_forward_progress 0
		.amdhsa_shared_vgpr_count 0
		.amdhsa_exception_fp_ieee_invalid_op 0
		.amdhsa_exception_fp_denorm_src 0
		.amdhsa_exception_fp_ieee_div_zero 0
		.amdhsa_exception_fp_ieee_overflow 0
		.amdhsa_exception_fp_ieee_underflow 0
		.amdhsa_exception_fp_ieee_inexact 0
		.amdhsa_exception_int_div_zero 0
	.end_amdhsa_kernel
	.section	.text._Z20thread_reduce_kernelIjLi4EEvPT_S1_,"axG",@progbits,_Z20thread_reduce_kernelIjLi4EEvPT_S1_,comdat
.Lfunc_end45:
	.size	_Z20thread_reduce_kernelIjLi4EEvPT_S1_, .Lfunc_end45-_Z20thread_reduce_kernelIjLi4EEvPT_S1_
                                        ; -- End function
	.section	.AMDGPU.csdata,"",@progbits
; Kernel info:
; codeLenInByte = 136
; NumSgprs: 18
; NumVgprs: 6
; ScratchSize: 0
; MemoryBound: 0
; FloatMode: 240
; IeeeMode: 1
; LDSByteSize: 0 bytes/workgroup (compile time only)
; SGPRBlocks: 2
; VGPRBlocks: 0
; NumSGPRsForWavesPerEU: 18
; NumVGPRsForWavesPerEU: 6
; Occupancy: 16
; WaveLimiterHint : 0
; COMPUTE_PGM_RSRC2:SCRATCH_EN: 0
; COMPUTE_PGM_RSRC2:USER_SGPR: 15
; COMPUTE_PGM_RSRC2:TRAP_HANDLER: 0
; COMPUTE_PGM_RSRC2:TGID_X_EN: 1
; COMPUTE_PGM_RSRC2:TGID_Y_EN: 0
; COMPUTE_PGM_RSRC2:TGID_Z_EN: 0
; COMPUTE_PGM_RSRC2:TIDIG_COMP_CNT: 0
	.section	.text._Z20thread_reduce_kernelItLi4EEvPT_S1_,"axG",@progbits,_Z20thread_reduce_kernelItLi4EEvPT_S1_,comdat
	.protected	_Z20thread_reduce_kernelItLi4EEvPT_S1_ ; -- Begin function _Z20thread_reduce_kernelItLi4EEvPT_S1_
	.globl	_Z20thread_reduce_kernelItLi4EEvPT_S1_
	.p2align	8
	.type	_Z20thread_reduce_kernelItLi4EEvPT_S1_,@function
_Z20thread_reduce_kernelItLi4EEvPT_S1_: ; @_Z20thread_reduce_kernelItLi4EEvPT_S1_
; %bb.0:
	s_clause 0x1
	s_load_b32 s4, s[0:1], 0x1c
	s_load_b128 s[0:3], s[0:1], 0x0
	v_mov_b32_e32 v1, 0
	s_waitcnt lgkmcnt(0)
	s_and_b32 s4, s4, 0xffff
	s_delay_alu instid0(SALU_CYCLE_1) | instskip(NEXT) | instid1(SALU_CYCLE_1)
	s_mul_i32 s15, s15, s4
	v_add_lshl_u32 v0, s15, v0, 2
	s_delay_alu instid0(VALU_DEP_1) | instskip(NEXT) | instid1(VALU_DEP_1)
	v_lshlrev_b64 v[0:1], 1, v[0:1]
	v_add_co_u32 v2, vcc_lo, s0, v0
	s_delay_alu instid0(VALU_DEP_2)
	v_add_co_ci_u32_e32 v3, vcc_lo, s1, v1, vcc_lo
	v_add_co_u32 v0, vcc_lo, s2, v0
	v_add_co_ci_u32_e32 v1, vcc_lo, s3, v1, vcc_lo
	global_load_b64 v[2:3], v[2:3], off
	s_waitcnt vmcnt(0)
	v_pk_add_u16 v2, v2, v3
	s_delay_alu instid0(VALU_DEP_1) | instskip(NEXT) | instid1(VALU_DEP_1)
	v_lshrrev_b32_e32 v3, 16, v2
	v_add_nc_u16 v2, v2, v3
	global_store_b16 v[0:1], v2, off
	s_nop 0
	s_sendmsg sendmsg(MSG_DEALLOC_VGPRS)
	s_endpgm
	.section	.rodata,"a",@progbits
	.p2align	6, 0x0
	.amdhsa_kernel _Z20thread_reduce_kernelItLi4EEvPT_S1_
		.amdhsa_group_segment_fixed_size 0
		.amdhsa_private_segment_fixed_size 0
		.amdhsa_kernarg_size 272
		.amdhsa_user_sgpr_count 15
		.amdhsa_user_sgpr_dispatch_ptr 0
		.amdhsa_user_sgpr_queue_ptr 0
		.amdhsa_user_sgpr_kernarg_segment_ptr 1
		.amdhsa_user_sgpr_dispatch_id 0
		.amdhsa_user_sgpr_private_segment_size 0
		.amdhsa_wavefront_size32 1
		.amdhsa_uses_dynamic_stack 0
		.amdhsa_enable_private_segment 0
		.amdhsa_system_sgpr_workgroup_id_x 1
		.amdhsa_system_sgpr_workgroup_id_y 0
		.amdhsa_system_sgpr_workgroup_id_z 0
		.amdhsa_system_sgpr_workgroup_info 0
		.amdhsa_system_vgpr_workitem_id 0
		.amdhsa_next_free_vgpr 4
		.amdhsa_next_free_sgpr 16
		.amdhsa_reserve_vcc 1
		.amdhsa_float_round_mode_32 0
		.amdhsa_float_round_mode_16_64 0
		.amdhsa_float_denorm_mode_32 3
		.amdhsa_float_denorm_mode_16_64 3
		.amdhsa_dx10_clamp 1
		.amdhsa_ieee_mode 1
		.amdhsa_fp16_overflow 0
		.amdhsa_workgroup_processor_mode 1
		.amdhsa_memory_ordered 1
		.amdhsa_forward_progress 0
		.amdhsa_shared_vgpr_count 0
		.amdhsa_exception_fp_ieee_invalid_op 0
		.amdhsa_exception_fp_denorm_src 0
		.amdhsa_exception_fp_ieee_div_zero 0
		.amdhsa_exception_fp_ieee_overflow 0
		.amdhsa_exception_fp_ieee_underflow 0
		.amdhsa_exception_fp_ieee_inexact 0
		.amdhsa_exception_int_div_zero 0
	.end_amdhsa_kernel
	.section	.text._Z20thread_reduce_kernelItLi4EEvPT_S1_,"axG",@progbits,_Z20thread_reduce_kernelItLi4EEvPT_S1_,comdat
.Lfunc_end46:
	.size	_Z20thread_reduce_kernelItLi4EEvPT_S1_, .Lfunc_end46-_Z20thread_reduce_kernelItLi4EEvPT_S1_
                                        ; -- End function
	.section	.AMDGPU.csdata,"",@progbits
; Kernel info:
; codeLenInByte = 148
; NumSgprs: 18
; NumVgprs: 4
; ScratchSize: 0
; MemoryBound: 0
; FloatMode: 240
; IeeeMode: 1
; LDSByteSize: 0 bytes/workgroup (compile time only)
; SGPRBlocks: 2
; VGPRBlocks: 0
; NumSGPRsForWavesPerEU: 18
; NumVGPRsForWavesPerEU: 4
; Occupancy: 16
; WaveLimiterHint : 0
; COMPUTE_PGM_RSRC2:SCRATCH_EN: 0
; COMPUTE_PGM_RSRC2:USER_SGPR: 15
; COMPUTE_PGM_RSRC2:TRAP_HANDLER: 0
; COMPUTE_PGM_RSRC2:TGID_X_EN: 1
; COMPUTE_PGM_RSRC2:TGID_Y_EN: 0
; COMPUTE_PGM_RSRC2:TGID_Z_EN: 0
; COMPUTE_PGM_RSRC2:TIDIG_COMP_CNT: 0
	.section	.text._Z20thread_reduce_kernelIhLi4EEvPT_S1_,"axG",@progbits,_Z20thread_reduce_kernelIhLi4EEvPT_S1_,comdat
	.protected	_Z20thread_reduce_kernelIhLi4EEvPT_S1_ ; -- Begin function _Z20thread_reduce_kernelIhLi4EEvPT_S1_
	.globl	_Z20thread_reduce_kernelIhLi4EEvPT_S1_
	.p2align	8
	.type	_Z20thread_reduce_kernelIhLi4EEvPT_S1_,@function
_Z20thread_reduce_kernelIhLi4EEvPT_S1_: ; @_Z20thread_reduce_kernelIhLi4EEvPT_S1_
; %bb.0:
	s_clause 0x1
	s_load_b32 s4, s[0:1], 0x1c
	s_load_b128 s[0:3], s[0:1], 0x0
	s_waitcnt lgkmcnt(0)
	s_and_b32 s4, s4, 0xffff
	s_delay_alu instid0(SALU_CYCLE_1) | instskip(NEXT) | instid1(SALU_CYCLE_1)
	s_mul_i32 s15, s15, s4
	v_add_lshl_u32 v0, s15, v0, 2
	global_load_b32 v1, v0, s[0:1]
	s_waitcnt vmcnt(0)
	v_lshrrev_b32_e32 v2, 8, v1
	v_lshrrev_b32_e32 v3, 16, v1
	s_delay_alu instid0(VALU_DEP_2) | instskip(SKIP_1) | instid1(VALU_DEP_2)
	v_add_nc_u16 v2, v2, v1
	v_lshrrev_b32_e32 v1, 24, v1
	v_add_nc_u16 v2, v2, v3
	s_delay_alu instid0(VALU_DEP_1)
	v_add_nc_u16 v1, v2, v1
	global_store_b8 v0, v1, s[2:3]
	s_nop 0
	s_sendmsg sendmsg(MSG_DEALLOC_VGPRS)
	s_endpgm
	.section	.rodata,"a",@progbits
	.p2align	6, 0x0
	.amdhsa_kernel _Z20thread_reduce_kernelIhLi4EEvPT_S1_
		.amdhsa_group_segment_fixed_size 0
		.amdhsa_private_segment_fixed_size 0
		.amdhsa_kernarg_size 272
		.amdhsa_user_sgpr_count 15
		.amdhsa_user_sgpr_dispatch_ptr 0
		.amdhsa_user_sgpr_queue_ptr 0
		.amdhsa_user_sgpr_kernarg_segment_ptr 1
		.amdhsa_user_sgpr_dispatch_id 0
		.amdhsa_user_sgpr_private_segment_size 0
		.amdhsa_wavefront_size32 1
		.amdhsa_uses_dynamic_stack 0
		.amdhsa_enable_private_segment 0
		.amdhsa_system_sgpr_workgroup_id_x 1
		.amdhsa_system_sgpr_workgroup_id_y 0
		.amdhsa_system_sgpr_workgroup_id_z 0
		.amdhsa_system_sgpr_workgroup_info 0
		.amdhsa_system_vgpr_workitem_id 0
		.amdhsa_next_free_vgpr 4
		.amdhsa_next_free_sgpr 16
		.amdhsa_reserve_vcc 0
		.amdhsa_float_round_mode_32 0
		.amdhsa_float_round_mode_16_64 0
		.amdhsa_float_denorm_mode_32 3
		.amdhsa_float_denorm_mode_16_64 3
		.amdhsa_dx10_clamp 1
		.amdhsa_ieee_mode 1
		.amdhsa_fp16_overflow 0
		.amdhsa_workgroup_processor_mode 1
		.amdhsa_memory_ordered 1
		.amdhsa_forward_progress 0
		.amdhsa_shared_vgpr_count 0
		.amdhsa_exception_fp_ieee_invalid_op 0
		.amdhsa_exception_fp_denorm_src 0
		.amdhsa_exception_fp_ieee_div_zero 0
		.amdhsa_exception_fp_ieee_overflow 0
		.amdhsa_exception_fp_ieee_underflow 0
		.amdhsa_exception_fp_ieee_inexact 0
		.amdhsa_exception_int_div_zero 0
	.end_amdhsa_kernel
	.section	.text._Z20thread_reduce_kernelIhLi4EEvPT_S1_,"axG",@progbits,_Z20thread_reduce_kernelIhLi4EEvPT_S1_,comdat
.Lfunc_end47:
	.size	_Z20thread_reduce_kernelIhLi4EEvPT_S1_, .Lfunc_end47-_Z20thread_reduce_kernelIhLi4EEvPT_S1_
                                        ; -- End function
	.section	.AMDGPU.csdata,"",@progbits
; Kernel info:
; codeLenInByte = 124
; NumSgprs: 16
; NumVgprs: 4
; ScratchSize: 0
; MemoryBound: 0
; FloatMode: 240
; IeeeMode: 1
; LDSByteSize: 0 bytes/workgroup (compile time only)
; SGPRBlocks: 1
; VGPRBlocks: 0
; NumSGPRsForWavesPerEU: 16
; NumVGPRsForWavesPerEU: 4
; Occupancy: 16
; WaveLimiterHint : 0
; COMPUTE_PGM_RSRC2:SCRATCH_EN: 0
; COMPUTE_PGM_RSRC2:USER_SGPR: 15
; COMPUTE_PGM_RSRC2:TRAP_HANDLER: 0
; COMPUTE_PGM_RSRC2:TGID_X_EN: 1
; COMPUTE_PGM_RSRC2:TGID_Y_EN: 0
; COMPUTE_PGM_RSRC2:TGID_Z_EN: 0
; COMPUTE_PGM_RSRC2:TIDIG_COMP_CNT: 0
	.section	.text._Z18thread_scan_kernelIoLi4EEvPT_S1_,"axG",@progbits,_Z18thread_scan_kernelIoLi4EEvPT_S1_,comdat
	.protected	_Z18thread_scan_kernelIoLi4EEvPT_S1_ ; -- Begin function _Z18thread_scan_kernelIoLi4EEvPT_S1_
	.globl	_Z18thread_scan_kernelIoLi4EEvPT_S1_
	.p2align	8
	.type	_Z18thread_scan_kernelIoLi4EEvPT_S1_,@function
_Z18thread_scan_kernelIoLi4EEvPT_S1_:   ; @_Z18thread_scan_kernelIoLi4EEvPT_S1_
; %bb.0:
	s_clause 0x1
	s_load_b32 s4, s[0:1], 0x1c
	s_load_b128 s[0:3], s[0:1], 0x0
	v_mov_b32_e32 v1, 0
	s_waitcnt lgkmcnt(0)
	s_and_b32 s4, s4, 0xffff
	s_delay_alu instid0(SALU_CYCLE_1) | instskip(NEXT) | instid1(SALU_CYCLE_1)
	s_mul_i32 s15, s15, s4
	v_add_lshl_u32 v0, s15, v0, 2
	s_delay_alu instid0(VALU_DEP_1) | instskip(NEXT) | instid1(VALU_DEP_1)
	v_lshlrev_b64 v[4:5], 4, v[0:1]
	v_add_co_u32 v8, vcc_lo, s0, v4
	s_delay_alu instid0(VALU_DEP_2)
	v_add_co_ci_u32_e32 v9, vcc_lo, s1, v5, vcc_lo
	v_add_co_u32 v10, vcc_lo, s2, v4
	v_add_co_ci_u32_e32 v11, vcc_lo, s3, v5, vcc_lo
	global_load_b128 v[0:3], v[8:9], off
	s_waitcnt vmcnt(0)
	global_store_b128 v[10:11], v[0:3], off
	global_load_b128 v[4:7], v[8:9], off offset:16
	s_waitcnt vmcnt(0)
	v_add_co_u32 v0, vcc_lo, v4, v0
	v_add_co_ci_u32_e32 v1, vcc_lo, v5, v1, vcc_lo
	v_add_co_ci_u32_e32 v2, vcc_lo, v6, v2, vcc_lo
	v_add_co_ci_u32_e32 v3, vcc_lo, v7, v3, vcc_lo
	global_store_b128 v[10:11], v[0:3], off offset:16
	global_load_b128 v[4:7], v[8:9], off offset:32
	s_waitcnt vmcnt(0)
	v_add_co_u32 v0, vcc_lo, v4, v0
	v_add_co_ci_u32_e32 v1, vcc_lo, v5, v1, vcc_lo
	v_add_co_ci_u32_e32 v2, vcc_lo, v6, v2, vcc_lo
	v_add_co_ci_u32_e32 v3, vcc_lo, v7, v3, vcc_lo
	global_store_b128 v[10:11], v[0:3], off offset:32
	;; [unrolled: 7-line block ×3, first 2 shown]
	s_nop 0
	s_sendmsg sendmsg(MSG_DEALLOC_VGPRS)
	s_endpgm
	.section	.rodata,"a",@progbits
	.p2align	6, 0x0
	.amdhsa_kernel _Z18thread_scan_kernelIoLi4EEvPT_S1_
		.amdhsa_group_segment_fixed_size 0
		.amdhsa_private_segment_fixed_size 0
		.amdhsa_kernarg_size 272
		.amdhsa_user_sgpr_count 15
		.amdhsa_user_sgpr_dispatch_ptr 0
		.amdhsa_user_sgpr_queue_ptr 0
		.amdhsa_user_sgpr_kernarg_segment_ptr 1
		.amdhsa_user_sgpr_dispatch_id 0
		.amdhsa_user_sgpr_private_segment_size 0
		.amdhsa_wavefront_size32 1
		.amdhsa_uses_dynamic_stack 0
		.amdhsa_enable_private_segment 0
		.amdhsa_system_sgpr_workgroup_id_x 1
		.amdhsa_system_sgpr_workgroup_id_y 0
		.amdhsa_system_sgpr_workgroup_id_z 0
		.amdhsa_system_sgpr_workgroup_info 0
		.amdhsa_system_vgpr_workitem_id 0
		.amdhsa_next_free_vgpr 12
		.amdhsa_next_free_sgpr 16
		.amdhsa_reserve_vcc 1
		.amdhsa_float_round_mode_32 0
		.amdhsa_float_round_mode_16_64 0
		.amdhsa_float_denorm_mode_32 3
		.amdhsa_float_denorm_mode_16_64 3
		.amdhsa_dx10_clamp 1
		.amdhsa_ieee_mode 1
		.amdhsa_fp16_overflow 0
		.amdhsa_workgroup_processor_mode 1
		.amdhsa_memory_ordered 1
		.amdhsa_forward_progress 0
		.amdhsa_shared_vgpr_count 0
		.amdhsa_exception_fp_ieee_invalid_op 0
		.amdhsa_exception_fp_denorm_src 0
		.amdhsa_exception_fp_ieee_div_zero 0
		.amdhsa_exception_fp_ieee_overflow 0
		.amdhsa_exception_fp_ieee_underflow 0
		.amdhsa_exception_fp_ieee_inexact 0
		.amdhsa_exception_int_div_zero 0
	.end_amdhsa_kernel
	.section	.text._Z18thread_scan_kernelIoLi4EEvPT_S1_,"axG",@progbits,_Z18thread_scan_kernelIoLi4EEvPT_S1_,comdat
.Lfunc_end48:
	.size	_Z18thread_scan_kernelIoLi4EEvPT_S1_, .Lfunc_end48-_Z18thread_scan_kernelIoLi4EEvPT_S1_
                                        ; -- End function
	.section	.AMDGPU.csdata,"",@progbits
; Kernel info:
; codeLenInByte = 244
; NumSgprs: 18
; NumVgprs: 12
; ScratchSize: 0
; MemoryBound: 1
; FloatMode: 240
; IeeeMode: 1
; LDSByteSize: 0 bytes/workgroup (compile time only)
; SGPRBlocks: 2
; VGPRBlocks: 1
; NumSGPRsForWavesPerEU: 18
; NumVGPRsForWavesPerEU: 12
; Occupancy: 16
; WaveLimiterHint : 1
; COMPUTE_PGM_RSRC2:SCRATCH_EN: 0
; COMPUTE_PGM_RSRC2:USER_SGPR: 15
; COMPUTE_PGM_RSRC2:TRAP_HANDLER: 0
; COMPUTE_PGM_RSRC2:TGID_X_EN: 1
; COMPUTE_PGM_RSRC2:TGID_Y_EN: 0
; COMPUTE_PGM_RSRC2:TGID_Z_EN: 0
; COMPUTE_PGM_RSRC2:TIDIG_COMP_CNT: 0
	.section	.text._Z18thread_scan_kernelIN6common11custom_typeIddLb1EEELi4EEvPT_S4_,"axG",@progbits,_Z18thread_scan_kernelIN6common11custom_typeIddLb1EEELi4EEvPT_S4_,comdat
	.protected	_Z18thread_scan_kernelIN6common11custom_typeIddLb1EEELi4EEvPT_S4_ ; -- Begin function _Z18thread_scan_kernelIN6common11custom_typeIddLb1EEELi4EEvPT_S4_
	.globl	_Z18thread_scan_kernelIN6common11custom_typeIddLb1EEELi4EEvPT_S4_
	.p2align	8
	.type	_Z18thread_scan_kernelIN6common11custom_typeIddLb1EEELi4EEvPT_S4_,@function
_Z18thread_scan_kernelIN6common11custom_typeIddLb1EEELi4EEvPT_S4_: ; @_Z18thread_scan_kernelIN6common11custom_typeIddLb1EEELi4EEvPT_S4_
; %bb.0:
	s_clause 0x1
	s_load_b32 s4, s[0:1], 0x1c
	s_load_b128 s[0:3], s[0:1], 0x0
	v_mov_b32_e32 v1, 0
	s_waitcnt lgkmcnt(0)
	s_and_b32 s4, s4, 0xffff
	s_delay_alu instid0(SALU_CYCLE_1) | instskip(NEXT) | instid1(SALU_CYCLE_1)
	s_mul_i32 s15, s15, s4
	v_add_lshl_u32 v0, s15, v0, 2
	s_delay_alu instid0(VALU_DEP_1) | instskip(NEXT) | instid1(VALU_DEP_1)
	v_lshlrev_b64 v[4:5], 4, v[0:1]
	v_add_co_u32 v8, vcc_lo, s0, v4
	s_delay_alu instid0(VALU_DEP_2)
	v_add_co_ci_u32_e32 v9, vcc_lo, s1, v5, vcc_lo
	v_add_co_u32 v10, vcc_lo, s2, v4
	v_add_co_ci_u32_e32 v11, vcc_lo, s3, v5, vcc_lo
	global_load_b128 v[0:3], v[8:9], off
	s_waitcnt vmcnt(0)
	global_store_b128 v[10:11], v[0:3], off
	global_load_b128 v[4:7], v[8:9], off offset:16
	s_waitcnt vmcnt(0)
	v_add_f64 v[0:1], v[0:1], v[4:5]
	v_add_f64 v[2:3], v[2:3], v[6:7]
	global_store_b128 v[10:11], v[0:3], off offset:16
	global_load_b128 v[4:7], v[8:9], off offset:32
	s_waitcnt vmcnt(0)
	v_add_f64 v[0:1], v[0:1], v[4:5]
	v_add_f64 v[2:3], v[2:3], v[6:7]
	global_store_b128 v[10:11], v[0:3], off offset:32
	;; [unrolled: 5-line block ×3, first 2 shown]
	s_nop 0
	s_sendmsg sendmsg(MSG_DEALLOC_VGPRS)
	s_endpgm
	.section	.rodata,"a",@progbits
	.p2align	6, 0x0
	.amdhsa_kernel _Z18thread_scan_kernelIN6common11custom_typeIddLb1EEELi4EEvPT_S4_
		.amdhsa_group_segment_fixed_size 0
		.amdhsa_private_segment_fixed_size 0
		.amdhsa_kernarg_size 272
		.amdhsa_user_sgpr_count 15
		.amdhsa_user_sgpr_dispatch_ptr 0
		.amdhsa_user_sgpr_queue_ptr 0
		.amdhsa_user_sgpr_kernarg_segment_ptr 1
		.amdhsa_user_sgpr_dispatch_id 0
		.amdhsa_user_sgpr_private_segment_size 0
		.amdhsa_wavefront_size32 1
		.amdhsa_uses_dynamic_stack 0
		.amdhsa_enable_private_segment 0
		.amdhsa_system_sgpr_workgroup_id_x 1
		.amdhsa_system_sgpr_workgroup_id_y 0
		.amdhsa_system_sgpr_workgroup_id_z 0
		.amdhsa_system_sgpr_workgroup_info 0
		.amdhsa_system_vgpr_workitem_id 0
		.amdhsa_next_free_vgpr 12
		.amdhsa_next_free_sgpr 16
		.amdhsa_reserve_vcc 1
		.amdhsa_float_round_mode_32 0
		.amdhsa_float_round_mode_16_64 0
		.amdhsa_float_denorm_mode_32 3
		.amdhsa_float_denorm_mode_16_64 3
		.amdhsa_dx10_clamp 1
		.amdhsa_ieee_mode 1
		.amdhsa_fp16_overflow 0
		.amdhsa_workgroup_processor_mode 1
		.amdhsa_memory_ordered 1
		.amdhsa_forward_progress 0
		.amdhsa_shared_vgpr_count 0
		.amdhsa_exception_fp_ieee_invalid_op 0
		.amdhsa_exception_fp_denorm_src 0
		.amdhsa_exception_fp_ieee_div_zero 0
		.amdhsa_exception_fp_ieee_overflow 0
		.amdhsa_exception_fp_ieee_underflow 0
		.amdhsa_exception_fp_ieee_inexact 0
		.amdhsa_exception_int_div_zero 0
	.end_amdhsa_kernel
	.section	.text._Z18thread_scan_kernelIN6common11custom_typeIddLb1EEELi4EEvPT_S4_,"axG",@progbits,_Z18thread_scan_kernelIN6common11custom_typeIddLb1EEELi4EEvPT_S4_,comdat
.Lfunc_end49:
	.size	_Z18thread_scan_kernelIN6common11custom_typeIddLb1EEELi4EEvPT_S4_, .Lfunc_end49-_Z18thread_scan_kernelIN6common11custom_typeIddLb1EEELi4EEvPT_S4_
                                        ; -- End function
	.section	.AMDGPU.csdata,"",@progbits
; Kernel info:
; codeLenInByte = 232
; NumSgprs: 18
; NumVgprs: 12
; ScratchSize: 0
; MemoryBound: 0
; FloatMode: 240
; IeeeMode: 1
; LDSByteSize: 0 bytes/workgroup (compile time only)
; SGPRBlocks: 2
; VGPRBlocks: 1
; NumSGPRsForWavesPerEU: 18
; NumVGPRsForWavesPerEU: 12
; Occupancy: 16
; WaveLimiterHint : 0
; COMPUTE_PGM_RSRC2:SCRATCH_EN: 0
; COMPUTE_PGM_RSRC2:USER_SGPR: 15
; COMPUTE_PGM_RSRC2:TRAP_HANDLER: 0
; COMPUTE_PGM_RSRC2:TGID_X_EN: 1
; COMPUTE_PGM_RSRC2:TGID_Y_EN: 0
; COMPUTE_PGM_RSRC2:TGID_Z_EN: 0
; COMPUTE_PGM_RSRC2:TIDIG_COMP_CNT: 0
	.section	.text._Z18thread_scan_kernelIN6common11custom_typeImmLb1EEELi4EEvPT_S4_,"axG",@progbits,_Z18thread_scan_kernelIN6common11custom_typeImmLb1EEELi4EEvPT_S4_,comdat
	.protected	_Z18thread_scan_kernelIN6common11custom_typeImmLb1EEELi4EEvPT_S4_ ; -- Begin function _Z18thread_scan_kernelIN6common11custom_typeImmLb1EEELi4EEvPT_S4_
	.globl	_Z18thread_scan_kernelIN6common11custom_typeImmLb1EEELi4EEvPT_S4_
	.p2align	8
	.type	_Z18thread_scan_kernelIN6common11custom_typeImmLb1EEELi4EEvPT_S4_,@function
_Z18thread_scan_kernelIN6common11custom_typeImmLb1EEELi4EEvPT_S4_: ; @_Z18thread_scan_kernelIN6common11custom_typeImmLb1EEELi4EEvPT_S4_
; %bb.0:
	s_clause 0x1
	s_load_b32 s4, s[0:1], 0x1c
	s_load_b128 s[0:3], s[0:1], 0x0
	v_mov_b32_e32 v1, 0
	s_waitcnt lgkmcnt(0)
	s_and_b32 s4, s4, 0xffff
	s_delay_alu instid0(SALU_CYCLE_1) | instskip(NEXT) | instid1(SALU_CYCLE_1)
	s_mul_i32 s15, s15, s4
	v_add_lshl_u32 v0, s15, v0, 2
	s_delay_alu instid0(VALU_DEP_1) | instskip(NEXT) | instid1(VALU_DEP_1)
	v_lshlrev_b64 v[4:5], 4, v[0:1]
	v_add_co_u32 v8, vcc_lo, s0, v4
	s_delay_alu instid0(VALU_DEP_2)
	v_add_co_ci_u32_e32 v9, vcc_lo, s1, v5, vcc_lo
	v_add_co_u32 v10, vcc_lo, s2, v4
	v_add_co_ci_u32_e32 v11, vcc_lo, s3, v5, vcc_lo
	global_load_b128 v[0:3], v[8:9], off
	s_waitcnt vmcnt(0)
	global_store_b128 v[10:11], v[0:3], off
	global_load_b128 v[4:7], v[8:9], off offset:16
	s_waitcnt vmcnt(0)
	v_add_co_u32 v0, vcc_lo, v4, v0
	v_add_co_ci_u32_e32 v1, vcc_lo, v5, v1, vcc_lo
	v_add_co_u32 v2, vcc_lo, v6, v2
	v_add_co_ci_u32_e32 v3, vcc_lo, v7, v3, vcc_lo
	global_store_b128 v[10:11], v[0:3], off offset:16
	global_load_b128 v[4:7], v[8:9], off offset:32
	s_waitcnt vmcnt(0)
	v_add_co_u32 v0, vcc_lo, v4, v0
	v_add_co_ci_u32_e32 v1, vcc_lo, v5, v1, vcc_lo
	v_add_co_u32 v2, vcc_lo, v6, v2
	v_add_co_ci_u32_e32 v3, vcc_lo, v7, v3, vcc_lo
	global_store_b128 v[10:11], v[0:3], off offset:32
	;; [unrolled: 7-line block ×3, first 2 shown]
	s_nop 0
	s_sendmsg sendmsg(MSG_DEALLOC_VGPRS)
	s_endpgm
	.section	.rodata,"a",@progbits
	.p2align	6, 0x0
	.amdhsa_kernel _Z18thread_scan_kernelIN6common11custom_typeImmLb1EEELi4EEvPT_S4_
		.amdhsa_group_segment_fixed_size 0
		.amdhsa_private_segment_fixed_size 0
		.amdhsa_kernarg_size 272
		.amdhsa_user_sgpr_count 15
		.amdhsa_user_sgpr_dispatch_ptr 0
		.amdhsa_user_sgpr_queue_ptr 0
		.amdhsa_user_sgpr_kernarg_segment_ptr 1
		.amdhsa_user_sgpr_dispatch_id 0
		.amdhsa_user_sgpr_private_segment_size 0
		.amdhsa_wavefront_size32 1
		.amdhsa_uses_dynamic_stack 0
		.amdhsa_enable_private_segment 0
		.amdhsa_system_sgpr_workgroup_id_x 1
		.amdhsa_system_sgpr_workgroup_id_y 0
		.amdhsa_system_sgpr_workgroup_id_z 0
		.amdhsa_system_sgpr_workgroup_info 0
		.amdhsa_system_vgpr_workitem_id 0
		.amdhsa_next_free_vgpr 12
		.amdhsa_next_free_sgpr 16
		.amdhsa_reserve_vcc 1
		.amdhsa_float_round_mode_32 0
		.amdhsa_float_round_mode_16_64 0
		.amdhsa_float_denorm_mode_32 3
		.amdhsa_float_denorm_mode_16_64 3
		.amdhsa_dx10_clamp 1
		.amdhsa_ieee_mode 1
		.amdhsa_fp16_overflow 0
		.amdhsa_workgroup_processor_mode 1
		.amdhsa_memory_ordered 1
		.amdhsa_forward_progress 0
		.amdhsa_shared_vgpr_count 0
		.amdhsa_exception_fp_ieee_invalid_op 0
		.amdhsa_exception_fp_denorm_src 0
		.amdhsa_exception_fp_ieee_div_zero 0
		.amdhsa_exception_fp_ieee_overflow 0
		.amdhsa_exception_fp_ieee_underflow 0
		.amdhsa_exception_fp_ieee_inexact 0
		.amdhsa_exception_int_div_zero 0
	.end_amdhsa_kernel
	.section	.text._Z18thread_scan_kernelIN6common11custom_typeImmLb1EEELi4EEvPT_S4_,"axG",@progbits,_Z18thread_scan_kernelIN6common11custom_typeImmLb1EEELi4EEvPT_S4_,comdat
.Lfunc_end50:
	.size	_Z18thread_scan_kernelIN6common11custom_typeImmLb1EEELi4EEvPT_S4_, .Lfunc_end50-_Z18thread_scan_kernelIN6common11custom_typeImmLb1EEELi4EEvPT_S4_
                                        ; -- End function
	.section	.AMDGPU.csdata,"",@progbits
; Kernel info:
; codeLenInByte = 256
; NumSgprs: 18
; NumVgprs: 12
; ScratchSize: 0
; MemoryBound: 0
; FloatMode: 240
; IeeeMode: 1
; LDSByteSize: 0 bytes/workgroup (compile time only)
; SGPRBlocks: 2
; VGPRBlocks: 1
; NumSGPRsForWavesPerEU: 18
; NumVGPRsForWavesPerEU: 12
; Occupancy: 16
; WaveLimiterHint : 0
; COMPUTE_PGM_RSRC2:SCRATCH_EN: 0
; COMPUTE_PGM_RSRC2:USER_SGPR: 15
; COMPUTE_PGM_RSRC2:TRAP_HANDLER: 0
; COMPUTE_PGM_RSRC2:TGID_X_EN: 1
; COMPUTE_PGM_RSRC2:TGID_Y_EN: 0
; COMPUTE_PGM_RSRC2:TGID_Z_EN: 0
; COMPUTE_PGM_RSRC2:TIDIG_COMP_CNT: 0
	.section	.text._Z18thread_scan_kernelIdLi4EEvPT_S1_,"axG",@progbits,_Z18thread_scan_kernelIdLi4EEvPT_S1_,comdat
	.protected	_Z18thread_scan_kernelIdLi4EEvPT_S1_ ; -- Begin function _Z18thread_scan_kernelIdLi4EEvPT_S1_
	.globl	_Z18thread_scan_kernelIdLi4EEvPT_S1_
	.p2align	8
	.type	_Z18thread_scan_kernelIdLi4EEvPT_S1_,@function
_Z18thread_scan_kernelIdLi4EEvPT_S1_:   ; @_Z18thread_scan_kernelIdLi4EEvPT_S1_
; %bb.0:
	s_clause 0x1
	s_load_b32 s4, s[0:1], 0x1c
	s_load_b128 s[0:3], s[0:1], 0x0
	v_mov_b32_e32 v1, 0
	s_waitcnt lgkmcnt(0)
	s_and_b32 s4, s4, 0xffff
	s_delay_alu instid0(SALU_CYCLE_1) | instskip(NEXT) | instid1(SALU_CYCLE_1)
	s_mul_i32 s15, s15, s4
	v_add_lshl_u32 v0, s15, v0, 2
	s_delay_alu instid0(VALU_DEP_1) | instskip(NEXT) | instid1(VALU_DEP_1)
	v_lshlrev_b64 v[0:1], 3, v[0:1]
	v_add_co_u32 v2, vcc_lo, s0, v0
	s_delay_alu instid0(VALU_DEP_2)
	v_add_co_ci_u32_e32 v3, vcc_lo, s1, v1, vcc_lo
	v_add_co_u32 v0, vcc_lo, s2, v0
	v_add_co_ci_u32_e32 v1, vcc_lo, s3, v1, vcc_lo
	global_load_b64 v[4:5], v[2:3], off
	s_waitcnt vmcnt(0)
	global_store_b64 v[0:1], v[4:5], off
	global_load_b64 v[6:7], v[2:3], off offset:8
	s_waitcnt vmcnt(0)
	v_add_f64 v[4:5], v[4:5], v[6:7]
	global_store_b64 v[0:1], v[4:5], off offset:8
	global_load_b64 v[6:7], v[2:3], off offset:16
	s_waitcnt vmcnt(0)
	v_add_f64 v[4:5], v[4:5], v[6:7]
	global_store_b64 v[0:1], v[4:5], off offset:16
	;; [unrolled: 4-line block ×3, first 2 shown]
	s_nop 0
	s_sendmsg sendmsg(MSG_DEALLOC_VGPRS)
	s_endpgm
	.section	.rodata,"a",@progbits
	.p2align	6, 0x0
	.amdhsa_kernel _Z18thread_scan_kernelIdLi4EEvPT_S1_
		.amdhsa_group_segment_fixed_size 0
		.amdhsa_private_segment_fixed_size 0
		.amdhsa_kernarg_size 272
		.amdhsa_user_sgpr_count 15
		.amdhsa_user_sgpr_dispatch_ptr 0
		.amdhsa_user_sgpr_queue_ptr 0
		.amdhsa_user_sgpr_kernarg_segment_ptr 1
		.amdhsa_user_sgpr_dispatch_id 0
		.amdhsa_user_sgpr_private_segment_size 0
		.amdhsa_wavefront_size32 1
		.amdhsa_uses_dynamic_stack 0
		.amdhsa_enable_private_segment 0
		.amdhsa_system_sgpr_workgroup_id_x 1
		.amdhsa_system_sgpr_workgroup_id_y 0
		.amdhsa_system_sgpr_workgroup_id_z 0
		.amdhsa_system_sgpr_workgroup_info 0
		.amdhsa_system_vgpr_workitem_id 0
		.amdhsa_next_free_vgpr 8
		.amdhsa_next_free_sgpr 16
		.amdhsa_reserve_vcc 1
		.amdhsa_float_round_mode_32 0
		.amdhsa_float_round_mode_16_64 0
		.amdhsa_float_denorm_mode_32 3
		.amdhsa_float_denorm_mode_16_64 3
		.amdhsa_dx10_clamp 1
		.amdhsa_ieee_mode 1
		.amdhsa_fp16_overflow 0
		.amdhsa_workgroup_processor_mode 1
		.amdhsa_memory_ordered 1
		.amdhsa_forward_progress 0
		.amdhsa_shared_vgpr_count 0
		.amdhsa_exception_fp_ieee_invalid_op 0
		.amdhsa_exception_fp_denorm_src 0
		.amdhsa_exception_fp_ieee_div_zero 0
		.amdhsa_exception_fp_ieee_overflow 0
		.amdhsa_exception_fp_ieee_underflow 0
		.amdhsa_exception_fp_ieee_inexact 0
		.amdhsa_exception_int_div_zero 0
	.end_amdhsa_kernel
	.section	.text._Z18thread_scan_kernelIdLi4EEvPT_S1_,"axG",@progbits,_Z18thread_scan_kernelIdLi4EEvPT_S1_,comdat
.Lfunc_end51:
	.size	_Z18thread_scan_kernelIdLi4EEvPT_S1_, .Lfunc_end51-_Z18thread_scan_kernelIdLi4EEvPT_S1_
                                        ; -- End function
	.section	.AMDGPU.csdata,"",@progbits
; Kernel info:
; codeLenInByte = 208
; NumSgprs: 18
; NumVgprs: 8
; ScratchSize: 0
; MemoryBound: 1
; FloatMode: 240
; IeeeMode: 1
; LDSByteSize: 0 bytes/workgroup (compile time only)
; SGPRBlocks: 2
; VGPRBlocks: 0
; NumSGPRsForWavesPerEU: 18
; NumVGPRsForWavesPerEU: 8
; Occupancy: 16
; WaveLimiterHint : 1
; COMPUTE_PGM_RSRC2:SCRATCH_EN: 0
; COMPUTE_PGM_RSRC2:USER_SGPR: 15
; COMPUTE_PGM_RSRC2:TRAP_HANDLER: 0
; COMPUTE_PGM_RSRC2:TGID_X_EN: 1
; COMPUTE_PGM_RSRC2:TGID_Y_EN: 0
; COMPUTE_PGM_RSRC2:TGID_Z_EN: 0
; COMPUTE_PGM_RSRC2:TIDIG_COMP_CNT: 0
	.section	.text._Z18thread_scan_kernelIfLi4EEvPT_S1_,"axG",@progbits,_Z18thread_scan_kernelIfLi4EEvPT_S1_,comdat
	.protected	_Z18thread_scan_kernelIfLi4EEvPT_S1_ ; -- Begin function _Z18thread_scan_kernelIfLi4EEvPT_S1_
	.globl	_Z18thread_scan_kernelIfLi4EEvPT_S1_
	.p2align	8
	.type	_Z18thread_scan_kernelIfLi4EEvPT_S1_,@function
_Z18thread_scan_kernelIfLi4EEvPT_S1_:   ; @_Z18thread_scan_kernelIfLi4EEvPT_S1_
; %bb.0:
	s_clause 0x1
	s_load_b32 s4, s[0:1], 0x1c
	s_load_b128 s[0:3], s[0:1], 0x0
	v_mov_b32_e32 v1, 0
	s_waitcnt lgkmcnt(0)
	s_and_b32 s4, s4, 0xffff
	s_delay_alu instid0(SALU_CYCLE_1) | instskip(NEXT) | instid1(SALU_CYCLE_1)
	s_mul_i32 s15, s15, s4
	v_add_lshl_u32 v0, s15, v0, 2
	s_delay_alu instid0(VALU_DEP_1) | instskip(NEXT) | instid1(VALU_DEP_1)
	v_lshlrev_b64 v[0:1], 2, v[0:1]
	v_add_co_u32 v2, vcc_lo, s0, v0
	s_delay_alu instid0(VALU_DEP_2)
	v_add_co_ci_u32_e32 v3, vcc_lo, s1, v1, vcc_lo
	v_add_co_u32 v0, vcc_lo, s2, v0
	v_add_co_ci_u32_e32 v1, vcc_lo, s3, v1, vcc_lo
	global_load_b32 v4, v[2:3], off
	s_waitcnt vmcnt(0)
	global_store_b32 v[0:1], v4, off
	global_load_b32 v5, v[2:3], off offset:4
	s_waitcnt vmcnt(0)
	v_add_f32_e32 v4, v4, v5
	global_store_b32 v[0:1], v4, off offset:4
	global_load_b32 v5, v[2:3], off offset:8
	s_waitcnt vmcnt(0)
	v_add_f32_e32 v4, v4, v5
	global_store_b32 v[0:1], v4, off offset:8
	;; [unrolled: 4-line block ×3, first 2 shown]
	s_nop 0
	s_sendmsg sendmsg(MSG_DEALLOC_VGPRS)
	s_endpgm
	.section	.rodata,"a",@progbits
	.p2align	6, 0x0
	.amdhsa_kernel _Z18thread_scan_kernelIfLi4EEvPT_S1_
		.amdhsa_group_segment_fixed_size 0
		.amdhsa_private_segment_fixed_size 0
		.amdhsa_kernarg_size 272
		.amdhsa_user_sgpr_count 15
		.amdhsa_user_sgpr_dispatch_ptr 0
		.amdhsa_user_sgpr_queue_ptr 0
		.amdhsa_user_sgpr_kernarg_segment_ptr 1
		.amdhsa_user_sgpr_dispatch_id 0
		.amdhsa_user_sgpr_private_segment_size 0
		.amdhsa_wavefront_size32 1
		.amdhsa_uses_dynamic_stack 0
		.amdhsa_enable_private_segment 0
		.amdhsa_system_sgpr_workgroup_id_x 1
		.amdhsa_system_sgpr_workgroup_id_y 0
		.amdhsa_system_sgpr_workgroup_id_z 0
		.amdhsa_system_sgpr_workgroup_info 0
		.amdhsa_system_vgpr_workitem_id 0
		.amdhsa_next_free_vgpr 6
		.amdhsa_next_free_sgpr 16
		.amdhsa_reserve_vcc 1
		.amdhsa_float_round_mode_32 0
		.amdhsa_float_round_mode_16_64 0
		.amdhsa_float_denorm_mode_32 3
		.amdhsa_float_denorm_mode_16_64 3
		.amdhsa_dx10_clamp 1
		.amdhsa_ieee_mode 1
		.amdhsa_fp16_overflow 0
		.amdhsa_workgroup_processor_mode 1
		.amdhsa_memory_ordered 1
		.amdhsa_forward_progress 0
		.amdhsa_shared_vgpr_count 0
		.amdhsa_exception_fp_ieee_invalid_op 0
		.amdhsa_exception_fp_denorm_src 0
		.amdhsa_exception_fp_ieee_div_zero 0
		.amdhsa_exception_fp_ieee_overflow 0
		.amdhsa_exception_fp_ieee_underflow 0
		.amdhsa_exception_fp_ieee_inexact 0
		.amdhsa_exception_int_div_zero 0
	.end_amdhsa_kernel
	.section	.text._Z18thread_scan_kernelIfLi4EEvPT_S1_,"axG",@progbits,_Z18thread_scan_kernelIfLi4EEvPT_S1_,comdat
.Lfunc_end52:
	.size	_Z18thread_scan_kernelIfLi4EEvPT_S1_, .Lfunc_end52-_Z18thread_scan_kernelIfLi4EEvPT_S1_
                                        ; -- End function
	.section	.AMDGPU.csdata,"",@progbits
; Kernel info:
; codeLenInByte = 196
; NumSgprs: 18
; NumVgprs: 6
; ScratchSize: 0
; MemoryBound: 0
; FloatMode: 240
; IeeeMode: 1
; LDSByteSize: 0 bytes/workgroup (compile time only)
; SGPRBlocks: 2
; VGPRBlocks: 0
; NumSGPRsForWavesPerEU: 18
; NumVGPRsForWavesPerEU: 6
; Occupancy: 16
; WaveLimiterHint : 0
; COMPUTE_PGM_RSRC2:SCRATCH_EN: 0
; COMPUTE_PGM_RSRC2:USER_SGPR: 15
; COMPUTE_PGM_RSRC2:TRAP_HANDLER: 0
; COMPUTE_PGM_RSRC2:TGID_X_EN: 1
; COMPUTE_PGM_RSRC2:TGID_Y_EN: 0
; COMPUTE_PGM_RSRC2:TGID_Z_EN: 0
; COMPUTE_PGM_RSRC2:TIDIG_COMP_CNT: 0
	.section	.text._Z18thread_scan_kernelI12hip_bfloat16Li4EEvPT_S2_,"axG",@progbits,_Z18thread_scan_kernelI12hip_bfloat16Li4EEvPT_S2_,comdat
	.protected	_Z18thread_scan_kernelI12hip_bfloat16Li4EEvPT_S2_ ; -- Begin function _Z18thread_scan_kernelI12hip_bfloat16Li4EEvPT_S2_
	.globl	_Z18thread_scan_kernelI12hip_bfloat16Li4EEvPT_S2_
	.p2align	8
	.type	_Z18thread_scan_kernelI12hip_bfloat16Li4EEvPT_S2_,@function
_Z18thread_scan_kernelI12hip_bfloat16Li4EEvPT_S2_: ; @_Z18thread_scan_kernelI12hip_bfloat16Li4EEvPT_S2_
; %bb.0:
	s_clause 0x1
	s_load_b32 s4, s[0:1], 0x1c
	s_load_b128 s[0:3], s[0:1], 0x0
	v_mov_b32_e32 v1, 0
	s_waitcnt lgkmcnt(0)
	s_and_b32 s4, s4, 0xffff
	s_delay_alu instid0(SALU_CYCLE_1) | instskip(NEXT) | instid1(SALU_CYCLE_1)
	s_mul_i32 s15, s15, s4
	v_add_lshl_u32 v0, s15, v0, 2
	s_delay_alu instid0(VALU_DEP_1) | instskip(NEXT) | instid1(VALU_DEP_1)
	v_lshlrev_b64 v[0:1], 1, v[0:1]
	v_add_co_u32 v2, vcc_lo, s0, v0
	s_delay_alu instid0(VALU_DEP_2)
	v_add_co_ci_u32_e32 v3, vcc_lo, s1, v1, vcc_lo
	v_add_co_u32 v0, vcc_lo, s2, v0
	v_add_co_ci_u32_e32 v1, vcc_lo, s3, v1, vcc_lo
	global_load_u16 v4, v[2:3], off
	s_waitcnt vmcnt(0)
	global_store_b16 v[0:1], v4, off
	v_lshlrev_b32_e32 v4, 16, v4
	global_load_u16 v5, v[2:3], off offset:2
	s_waitcnt vmcnt(0)
	v_lshlrev_b32_e32 v5, 16, v5
	s_delay_alu instid0(VALU_DEP_1) | instskip(NEXT) | instid1(VALU_DEP_1)
	v_add_f32_e32 v4, v4, v5
	v_and_b32_e32 v5, 0x7f800000, v4
	s_delay_alu instid0(VALU_DEP_1) | instskip(SKIP_1) | instid1(SALU_CYCLE_1)
	v_cmp_ne_u32_e32 vcc_lo, 0x7f800000, v5
                                        ; implicit-def: $vgpr5
	s_and_saveexec_b32 s0, vcc_lo
	s_xor_b32 s0, exec_lo, s0
; %bb.1:
	v_bfe_u32 v5, v4, 16, 1
	s_delay_alu instid0(VALU_DEP_1)
	v_add3_u32 v5, v4, v5, 0x7fff
                                        ; implicit-def: $vgpr4
; %bb.2:
	s_and_not1_saveexec_b32 s0, s0
; %bb.3:
	v_and_b32_e32 v5, 0xffff, v4
	v_or_b32_e32 v6, 0x10000, v4
	s_delay_alu instid0(VALU_DEP_2) | instskip(NEXT) | instid1(VALU_DEP_2)
	v_cmp_eq_u32_e32 vcc_lo, 0, v5
	v_cndmask_b32_e32 v5, v6, v4, vcc_lo
; %bb.4:
	s_or_b32 exec_lo, exec_lo, s0
	global_store_d16_hi_b16 v[0:1], v5, off offset:2
	global_load_u16 v4, v[2:3], off offset:4
	v_and_b32_e32 v5, 0xffff0000, v5
	s_waitcnt vmcnt(0)
	v_lshlrev_b32_e32 v4, 16, v4
	s_delay_alu instid0(VALU_DEP_1) | instskip(NEXT) | instid1(VALU_DEP_1)
	v_add_f32_e32 v4, v5, v4
	v_and_b32_e32 v5, 0x7f800000, v4
	s_delay_alu instid0(VALU_DEP_1) | instskip(SKIP_1) | instid1(SALU_CYCLE_1)
	v_cmp_ne_u32_e32 vcc_lo, 0x7f800000, v5
                                        ; implicit-def: $vgpr5
	s_and_saveexec_b32 s0, vcc_lo
	s_xor_b32 s0, exec_lo, s0
; %bb.5:
	v_bfe_u32 v5, v4, 16, 1
	s_delay_alu instid0(VALU_DEP_1)
	v_add3_u32 v5, v4, v5, 0x7fff
                                        ; implicit-def: $vgpr4
; %bb.6:
	s_and_not1_saveexec_b32 s0, s0
; %bb.7:
	v_and_b32_e32 v5, 0xffff, v4
	v_or_b32_e32 v6, 0x10000, v4
	s_delay_alu instid0(VALU_DEP_2) | instskip(NEXT) | instid1(VALU_DEP_2)
	v_cmp_eq_u32_e32 vcc_lo, 0, v5
	v_cndmask_b32_e32 v5, v6, v4, vcc_lo
; %bb.8:
	s_or_b32 exec_lo, exec_lo, s0
	global_store_d16_hi_b16 v[0:1], v5, off offset:4
	global_load_u16 v2, v[2:3], off offset:6
	v_and_b32_e32 v3, 0xffff0000, v5
	s_waitcnt vmcnt(0)
	v_lshlrev_b32_e32 v2, 16, v2
	s_delay_alu instid0(VALU_DEP_1) | instskip(NEXT) | instid1(VALU_DEP_1)
	v_add_f32_e32 v2, v3, v2
	v_and_b32_e32 v3, 0x7f800000, v2
	s_delay_alu instid0(VALU_DEP_1) | instskip(SKIP_1) | instid1(SALU_CYCLE_1)
	v_cmp_ne_u32_e32 vcc_lo, 0x7f800000, v3
                                        ; implicit-def: $vgpr3
	s_and_saveexec_b32 s0, vcc_lo
	s_xor_b32 s0, exec_lo, s0
	s_cbranch_execnz .LBB53_11
; %bb.9:
	s_and_not1_saveexec_b32 s0, s0
	s_cbranch_execnz .LBB53_12
.LBB53_10:
	s_or_b32 exec_lo, exec_lo, s0
	global_store_d16_hi_b16 v[0:1], v3, off offset:6
	s_nop 0
	s_sendmsg sendmsg(MSG_DEALLOC_VGPRS)
	s_endpgm
.LBB53_11:
	v_bfe_u32 v3, v2, 16, 1
	s_delay_alu instid0(VALU_DEP_1)
	v_add3_u32 v3, v2, v3, 0x7fff
                                        ; implicit-def: $vgpr2
	s_and_not1_saveexec_b32 s0, s0
	s_cbranch_execz .LBB53_10
.LBB53_12:
	v_and_b32_e32 v3, 0xffff, v2
	v_or_b32_e32 v4, 0x10000, v2
	s_delay_alu instid0(VALU_DEP_2) | instskip(NEXT) | instid1(VALU_DEP_2)
	v_cmp_eq_u32_e32 vcc_lo, 0, v3
	v_cndmask_b32_e32 v3, v4, v2, vcc_lo
	s_or_b32 exec_lo, exec_lo, s0
	global_store_d16_hi_b16 v[0:1], v3, off offset:6
	s_nop 0
	s_sendmsg sendmsg(MSG_DEALLOC_VGPRS)
	s_endpgm
	.section	.rodata,"a",@progbits
	.p2align	6, 0x0
	.amdhsa_kernel _Z18thread_scan_kernelI12hip_bfloat16Li4EEvPT_S2_
		.amdhsa_group_segment_fixed_size 0
		.amdhsa_private_segment_fixed_size 0
		.amdhsa_kernarg_size 272
		.amdhsa_user_sgpr_count 15
		.amdhsa_user_sgpr_dispatch_ptr 0
		.amdhsa_user_sgpr_queue_ptr 0
		.amdhsa_user_sgpr_kernarg_segment_ptr 1
		.amdhsa_user_sgpr_dispatch_id 0
		.amdhsa_user_sgpr_private_segment_size 0
		.amdhsa_wavefront_size32 1
		.amdhsa_uses_dynamic_stack 0
		.amdhsa_enable_private_segment 0
		.amdhsa_system_sgpr_workgroup_id_x 1
		.amdhsa_system_sgpr_workgroup_id_y 0
		.amdhsa_system_sgpr_workgroup_id_z 0
		.amdhsa_system_sgpr_workgroup_info 0
		.amdhsa_system_vgpr_workitem_id 0
		.amdhsa_next_free_vgpr 7
		.amdhsa_next_free_sgpr 16
		.amdhsa_reserve_vcc 1
		.amdhsa_float_round_mode_32 0
		.amdhsa_float_round_mode_16_64 0
		.amdhsa_float_denorm_mode_32 3
		.amdhsa_float_denorm_mode_16_64 3
		.amdhsa_dx10_clamp 1
		.amdhsa_ieee_mode 1
		.amdhsa_fp16_overflow 0
		.amdhsa_workgroup_processor_mode 1
		.amdhsa_memory_ordered 1
		.amdhsa_forward_progress 0
		.amdhsa_shared_vgpr_count 0
		.amdhsa_exception_fp_ieee_invalid_op 0
		.amdhsa_exception_fp_denorm_src 0
		.amdhsa_exception_fp_ieee_div_zero 0
		.amdhsa_exception_fp_ieee_overflow 0
		.amdhsa_exception_fp_ieee_underflow 0
		.amdhsa_exception_fp_ieee_inexact 0
		.amdhsa_exception_int_div_zero 0
	.end_amdhsa_kernel
	.section	.text._Z18thread_scan_kernelI12hip_bfloat16Li4EEvPT_S2_,"axG",@progbits,_Z18thread_scan_kernelI12hip_bfloat16Li4EEvPT_S2_,comdat
.Lfunc_end53:
	.size	_Z18thread_scan_kernelI12hip_bfloat16Li4EEvPT_S2_, .Lfunc_end53-_Z18thread_scan_kernelI12hip_bfloat16Li4EEvPT_S2_
                                        ; -- End function
	.section	.AMDGPU.csdata,"",@progbits
; Kernel info:
; codeLenInByte = 544
; NumSgprs: 18
; NumVgprs: 7
; ScratchSize: 0
; MemoryBound: 0
; FloatMode: 240
; IeeeMode: 1
; LDSByteSize: 0 bytes/workgroup (compile time only)
; SGPRBlocks: 2
; VGPRBlocks: 0
; NumSGPRsForWavesPerEU: 18
; NumVGPRsForWavesPerEU: 7
; Occupancy: 16
; WaveLimiterHint : 0
; COMPUTE_PGM_RSRC2:SCRATCH_EN: 0
; COMPUTE_PGM_RSRC2:USER_SGPR: 15
; COMPUTE_PGM_RSRC2:TRAP_HANDLER: 0
; COMPUTE_PGM_RSRC2:TGID_X_EN: 1
; COMPUTE_PGM_RSRC2:TGID_Y_EN: 0
; COMPUTE_PGM_RSRC2:TGID_Z_EN: 0
; COMPUTE_PGM_RSRC2:TIDIG_COMP_CNT: 0
	.section	.text._Z18thread_scan_kernelI6__halfLi4EEvPT_S2_,"axG",@progbits,_Z18thread_scan_kernelI6__halfLi4EEvPT_S2_,comdat
	.protected	_Z18thread_scan_kernelI6__halfLi4EEvPT_S2_ ; -- Begin function _Z18thread_scan_kernelI6__halfLi4EEvPT_S2_
	.globl	_Z18thread_scan_kernelI6__halfLi4EEvPT_S2_
	.p2align	8
	.type	_Z18thread_scan_kernelI6__halfLi4EEvPT_S2_,@function
_Z18thread_scan_kernelI6__halfLi4EEvPT_S2_: ; @_Z18thread_scan_kernelI6__halfLi4EEvPT_S2_
; %bb.0:
	s_clause 0x1
	s_load_b32 s4, s[0:1], 0x1c
	s_load_b128 s[0:3], s[0:1], 0x0
	v_mov_b32_e32 v1, 0
	s_waitcnt lgkmcnt(0)
	s_and_b32 s4, s4, 0xffff
	s_delay_alu instid0(SALU_CYCLE_1) | instskip(NEXT) | instid1(SALU_CYCLE_1)
	s_mul_i32 s15, s15, s4
	v_add_lshl_u32 v0, s15, v0, 2
	s_delay_alu instid0(VALU_DEP_1) | instskip(NEXT) | instid1(VALU_DEP_1)
	v_lshlrev_b64 v[0:1], 1, v[0:1]
	v_add_co_u32 v2, vcc_lo, s0, v0
	s_delay_alu instid0(VALU_DEP_2)
	v_add_co_ci_u32_e32 v3, vcc_lo, s1, v1, vcc_lo
	v_add_co_u32 v0, vcc_lo, s2, v0
	v_add_co_ci_u32_e32 v1, vcc_lo, s3, v1, vcc_lo
	global_load_u16 v4, v[2:3], off
	s_waitcnt vmcnt(0)
	global_store_b16 v[0:1], v4, off
	global_load_u16 v5, v[2:3], off offset:2
	s_waitcnt vmcnt(0)
	v_add_f16_e32 v4, v5, v4
	global_store_b16 v[0:1], v4, off offset:2
	global_load_u16 v5, v[2:3], off offset:4
	s_waitcnt vmcnt(0)
	v_add_f16_e32 v4, v4, v5
	global_store_b16 v[0:1], v4, off offset:4
	;; [unrolled: 4-line block ×3, first 2 shown]
	s_nop 0
	s_sendmsg sendmsg(MSG_DEALLOC_VGPRS)
	s_endpgm
	.section	.rodata,"a",@progbits
	.p2align	6, 0x0
	.amdhsa_kernel _Z18thread_scan_kernelI6__halfLi4EEvPT_S2_
		.amdhsa_group_segment_fixed_size 0
		.amdhsa_private_segment_fixed_size 0
		.amdhsa_kernarg_size 272
		.amdhsa_user_sgpr_count 15
		.amdhsa_user_sgpr_dispatch_ptr 0
		.amdhsa_user_sgpr_queue_ptr 0
		.amdhsa_user_sgpr_kernarg_segment_ptr 1
		.amdhsa_user_sgpr_dispatch_id 0
		.amdhsa_user_sgpr_private_segment_size 0
		.amdhsa_wavefront_size32 1
		.amdhsa_uses_dynamic_stack 0
		.amdhsa_enable_private_segment 0
		.amdhsa_system_sgpr_workgroup_id_x 1
		.amdhsa_system_sgpr_workgroup_id_y 0
		.amdhsa_system_sgpr_workgroup_id_z 0
		.amdhsa_system_sgpr_workgroup_info 0
		.amdhsa_system_vgpr_workitem_id 0
		.amdhsa_next_free_vgpr 6
		.amdhsa_next_free_sgpr 16
		.amdhsa_reserve_vcc 1
		.amdhsa_float_round_mode_32 0
		.amdhsa_float_round_mode_16_64 0
		.amdhsa_float_denorm_mode_32 3
		.amdhsa_float_denorm_mode_16_64 3
		.amdhsa_dx10_clamp 1
		.amdhsa_ieee_mode 1
		.amdhsa_fp16_overflow 0
		.amdhsa_workgroup_processor_mode 1
		.amdhsa_memory_ordered 1
		.amdhsa_forward_progress 0
		.amdhsa_shared_vgpr_count 0
		.amdhsa_exception_fp_ieee_invalid_op 0
		.amdhsa_exception_fp_denorm_src 0
		.amdhsa_exception_fp_ieee_div_zero 0
		.amdhsa_exception_fp_ieee_overflow 0
		.amdhsa_exception_fp_ieee_underflow 0
		.amdhsa_exception_fp_ieee_inexact 0
		.amdhsa_exception_int_div_zero 0
	.end_amdhsa_kernel
	.section	.text._Z18thread_scan_kernelI6__halfLi4EEvPT_S2_,"axG",@progbits,_Z18thread_scan_kernelI6__halfLi4EEvPT_S2_,comdat
.Lfunc_end54:
	.size	_Z18thread_scan_kernelI6__halfLi4EEvPT_S2_, .Lfunc_end54-_Z18thread_scan_kernelI6__halfLi4EEvPT_S2_
                                        ; -- End function
	.section	.AMDGPU.csdata,"",@progbits
; Kernel info:
; codeLenInByte = 196
; NumSgprs: 18
; NumVgprs: 6
; ScratchSize: 0
; MemoryBound: 0
; FloatMode: 240
; IeeeMode: 1
; LDSByteSize: 0 bytes/workgroup (compile time only)
; SGPRBlocks: 2
; VGPRBlocks: 0
; NumSGPRsForWavesPerEU: 18
; NumVGPRsForWavesPerEU: 6
; Occupancy: 16
; WaveLimiterHint : 0
; COMPUTE_PGM_RSRC2:SCRATCH_EN: 0
; COMPUTE_PGM_RSRC2:USER_SGPR: 15
; COMPUTE_PGM_RSRC2:TRAP_HANDLER: 0
; COMPUTE_PGM_RSRC2:TGID_X_EN: 1
; COMPUTE_PGM_RSRC2:TGID_Y_EN: 0
; COMPUTE_PGM_RSRC2:TGID_Z_EN: 0
; COMPUTE_PGM_RSRC2:TIDIG_COMP_CNT: 0
	.section	.text._Z18thread_scan_kernelIiLi4EEvPT_S1_,"axG",@progbits,_Z18thread_scan_kernelIiLi4EEvPT_S1_,comdat
	.protected	_Z18thread_scan_kernelIiLi4EEvPT_S1_ ; -- Begin function _Z18thread_scan_kernelIiLi4EEvPT_S1_
	.globl	_Z18thread_scan_kernelIiLi4EEvPT_S1_
	.p2align	8
	.type	_Z18thread_scan_kernelIiLi4EEvPT_S1_,@function
_Z18thread_scan_kernelIiLi4EEvPT_S1_:   ; @_Z18thread_scan_kernelIiLi4EEvPT_S1_
; %bb.0:
	s_clause 0x1
	s_load_b32 s4, s[0:1], 0x1c
	s_load_b128 s[0:3], s[0:1], 0x0
	v_mov_b32_e32 v1, 0
	s_waitcnt lgkmcnt(0)
	s_and_b32 s4, s4, 0xffff
	s_delay_alu instid0(SALU_CYCLE_1) | instskip(NEXT) | instid1(SALU_CYCLE_1)
	s_mul_i32 s15, s15, s4
	v_add_lshl_u32 v0, s15, v0, 2
	s_delay_alu instid0(VALU_DEP_1) | instskip(NEXT) | instid1(VALU_DEP_1)
	v_lshlrev_b64 v[0:1], 2, v[0:1]
	v_add_co_u32 v2, vcc_lo, s0, v0
	s_delay_alu instid0(VALU_DEP_2)
	v_add_co_ci_u32_e32 v3, vcc_lo, s1, v1, vcc_lo
	v_add_co_u32 v0, vcc_lo, s2, v0
	v_add_co_ci_u32_e32 v1, vcc_lo, s3, v1, vcc_lo
	global_load_b32 v4, v[2:3], off
	s_waitcnt vmcnt(0)
	global_store_b32 v[0:1], v4, off
	global_load_b32 v5, v[2:3], off offset:4
	s_waitcnt vmcnt(0)
	v_add_nc_u32_e32 v4, v5, v4
	global_store_b32 v[0:1], v4, off offset:4
	global_load_b32 v5, v[2:3], off offset:8
	s_waitcnt vmcnt(0)
	v_add_nc_u32_e32 v4, v5, v4
	global_store_b32 v[0:1], v4, off offset:8
	;; [unrolled: 4-line block ×3, first 2 shown]
	s_nop 0
	s_sendmsg sendmsg(MSG_DEALLOC_VGPRS)
	s_endpgm
	.section	.rodata,"a",@progbits
	.p2align	6, 0x0
	.amdhsa_kernel _Z18thread_scan_kernelIiLi4EEvPT_S1_
		.amdhsa_group_segment_fixed_size 0
		.amdhsa_private_segment_fixed_size 0
		.amdhsa_kernarg_size 272
		.amdhsa_user_sgpr_count 15
		.amdhsa_user_sgpr_dispatch_ptr 0
		.amdhsa_user_sgpr_queue_ptr 0
		.amdhsa_user_sgpr_kernarg_segment_ptr 1
		.amdhsa_user_sgpr_dispatch_id 0
		.amdhsa_user_sgpr_private_segment_size 0
		.amdhsa_wavefront_size32 1
		.amdhsa_uses_dynamic_stack 0
		.amdhsa_enable_private_segment 0
		.amdhsa_system_sgpr_workgroup_id_x 1
		.amdhsa_system_sgpr_workgroup_id_y 0
		.amdhsa_system_sgpr_workgroup_id_z 0
		.amdhsa_system_sgpr_workgroup_info 0
		.amdhsa_system_vgpr_workitem_id 0
		.amdhsa_next_free_vgpr 6
		.amdhsa_next_free_sgpr 16
		.amdhsa_reserve_vcc 1
		.amdhsa_float_round_mode_32 0
		.amdhsa_float_round_mode_16_64 0
		.amdhsa_float_denorm_mode_32 3
		.amdhsa_float_denorm_mode_16_64 3
		.amdhsa_dx10_clamp 1
		.amdhsa_ieee_mode 1
		.amdhsa_fp16_overflow 0
		.amdhsa_workgroup_processor_mode 1
		.amdhsa_memory_ordered 1
		.amdhsa_forward_progress 0
		.amdhsa_shared_vgpr_count 0
		.amdhsa_exception_fp_ieee_invalid_op 0
		.amdhsa_exception_fp_denorm_src 0
		.amdhsa_exception_fp_ieee_div_zero 0
		.amdhsa_exception_fp_ieee_overflow 0
		.amdhsa_exception_fp_ieee_underflow 0
		.amdhsa_exception_fp_ieee_inexact 0
		.amdhsa_exception_int_div_zero 0
	.end_amdhsa_kernel
	.section	.text._Z18thread_scan_kernelIiLi4EEvPT_S1_,"axG",@progbits,_Z18thread_scan_kernelIiLi4EEvPT_S1_,comdat
.Lfunc_end55:
	.size	_Z18thread_scan_kernelIiLi4EEvPT_S1_, .Lfunc_end55-_Z18thread_scan_kernelIiLi4EEvPT_S1_
                                        ; -- End function
	.section	.AMDGPU.csdata,"",@progbits
; Kernel info:
; codeLenInByte = 196
; NumSgprs: 18
; NumVgprs: 6
; ScratchSize: 0
; MemoryBound: 0
; FloatMode: 240
; IeeeMode: 1
; LDSByteSize: 0 bytes/workgroup (compile time only)
; SGPRBlocks: 2
; VGPRBlocks: 0
; NumSGPRsForWavesPerEU: 18
; NumVGPRsForWavesPerEU: 6
; Occupancy: 16
; WaveLimiterHint : 0
; COMPUTE_PGM_RSRC2:SCRATCH_EN: 0
; COMPUTE_PGM_RSRC2:USER_SGPR: 15
; COMPUTE_PGM_RSRC2:TRAP_HANDLER: 0
; COMPUTE_PGM_RSRC2:TGID_X_EN: 1
; COMPUTE_PGM_RSRC2:TGID_Y_EN: 0
; COMPUTE_PGM_RSRC2:TGID_Z_EN: 0
; COMPUTE_PGM_RSRC2:TIDIG_COMP_CNT: 0
	.section	.text._Z18thread_scan_kernelImLi4EEvPT_S1_,"axG",@progbits,_Z18thread_scan_kernelImLi4EEvPT_S1_,comdat
	.protected	_Z18thread_scan_kernelImLi4EEvPT_S1_ ; -- Begin function _Z18thread_scan_kernelImLi4EEvPT_S1_
	.globl	_Z18thread_scan_kernelImLi4EEvPT_S1_
	.p2align	8
	.type	_Z18thread_scan_kernelImLi4EEvPT_S1_,@function
_Z18thread_scan_kernelImLi4EEvPT_S1_:   ; @_Z18thread_scan_kernelImLi4EEvPT_S1_
; %bb.0:
	s_clause 0x1
	s_load_b32 s4, s[0:1], 0x1c
	s_load_b128 s[0:3], s[0:1], 0x0
	v_mov_b32_e32 v1, 0
	s_waitcnt lgkmcnt(0)
	s_and_b32 s4, s4, 0xffff
	s_delay_alu instid0(SALU_CYCLE_1) | instskip(NEXT) | instid1(SALU_CYCLE_1)
	s_mul_i32 s15, s15, s4
	v_add_lshl_u32 v0, s15, v0, 2
	s_delay_alu instid0(VALU_DEP_1) | instskip(NEXT) | instid1(VALU_DEP_1)
	v_lshlrev_b64 v[0:1], 3, v[0:1]
	v_add_co_u32 v2, vcc_lo, s0, v0
	s_delay_alu instid0(VALU_DEP_2)
	v_add_co_ci_u32_e32 v3, vcc_lo, s1, v1, vcc_lo
	v_add_co_u32 v0, vcc_lo, s2, v0
	v_add_co_ci_u32_e32 v1, vcc_lo, s3, v1, vcc_lo
	global_load_b64 v[4:5], v[2:3], off
	s_waitcnt vmcnt(0)
	global_store_b64 v[0:1], v[4:5], off
	global_load_b64 v[6:7], v[2:3], off offset:8
	s_waitcnt vmcnt(0)
	v_add_co_u32 v4, vcc_lo, v6, v4
	v_add_co_ci_u32_e32 v5, vcc_lo, v7, v5, vcc_lo
	global_store_b64 v[0:1], v[4:5], off offset:8
	global_load_b64 v[6:7], v[2:3], off offset:16
	s_waitcnt vmcnt(0)
	v_add_co_u32 v4, vcc_lo, v6, v4
	v_add_co_ci_u32_e32 v5, vcc_lo, v7, v5, vcc_lo
	global_store_b64 v[0:1], v[4:5], off offset:16
	;; [unrolled: 5-line block ×3, first 2 shown]
	s_nop 0
	s_sendmsg sendmsg(MSG_DEALLOC_VGPRS)
	s_endpgm
	.section	.rodata,"a",@progbits
	.p2align	6, 0x0
	.amdhsa_kernel _Z18thread_scan_kernelImLi4EEvPT_S1_
		.amdhsa_group_segment_fixed_size 0
		.amdhsa_private_segment_fixed_size 0
		.amdhsa_kernarg_size 272
		.amdhsa_user_sgpr_count 15
		.amdhsa_user_sgpr_dispatch_ptr 0
		.amdhsa_user_sgpr_queue_ptr 0
		.amdhsa_user_sgpr_kernarg_segment_ptr 1
		.amdhsa_user_sgpr_dispatch_id 0
		.amdhsa_user_sgpr_private_segment_size 0
		.amdhsa_wavefront_size32 1
		.amdhsa_uses_dynamic_stack 0
		.amdhsa_enable_private_segment 0
		.amdhsa_system_sgpr_workgroup_id_x 1
		.amdhsa_system_sgpr_workgroup_id_y 0
		.amdhsa_system_sgpr_workgroup_id_z 0
		.amdhsa_system_sgpr_workgroup_info 0
		.amdhsa_system_vgpr_workitem_id 0
		.amdhsa_next_free_vgpr 8
		.amdhsa_next_free_sgpr 16
		.amdhsa_reserve_vcc 1
		.amdhsa_float_round_mode_32 0
		.amdhsa_float_round_mode_16_64 0
		.amdhsa_float_denorm_mode_32 3
		.amdhsa_float_denorm_mode_16_64 3
		.amdhsa_dx10_clamp 1
		.amdhsa_ieee_mode 1
		.amdhsa_fp16_overflow 0
		.amdhsa_workgroup_processor_mode 1
		.amdhsa_memory_ordered 1
		.amdhsa_forward_progress 0
		.amdhsa_shared_vgpr_count 0
		.amdhsa_exception_fp_ieee_invalid_op 0
		.amdhsa_exception_fp_denorm_src 0
		.amdhsa_exception_fp_ieee_div_zero 0
		.amdhsa_exception_fp_ieee_overflow 0
		.amdhsa_exception_fp_ieee_underflow 0
		.amdhsa_exception_fp_ieee_inexact 0
		.amdhsa_exception_int_div_zero 0
	.end_amdhsa_kernel
	.section	.text._Z18thread_scan_kernelImLi4EEvPT_S1_,"axG",@progbits,_Z18thread_scan_kernelImLi4EEvPT_S1_,comdat
.Lfunc_end56:
	.size	_Z18thread_scan_kernelImLi4EEvPT_S1_, .Lfunc_end56-_Z18thread_scan_kernelImLi4EEvPT_S1_
                                        ; -- End function
	.section	.AMDGPU.csdata,"",@progbits
; Kernel info:
; codeLenInByte = 220
; NumSgprs: 18
; NumVgprs: 8
; ScratchSize: 0
; MemoryBound: 1
; FloatMode: 240
; IeeeMode: 1
; LDSByteSize: 0 bytes/workgroup (compile time only)
; SGPRBlocks: 2
; VGPRBlocks: 0
; NumSGPRsForWavesPerEU: 18
; NumVGPRsForWavesPerEU: 8
; Occupancy: 16
; WaveLimiterHint : 1
; COMPUTE_PGM_RSRC2:SCRATCH_EN: 0
; COMPUTE_PGM_RSRC2:USER_SGPR: 15
; COMPUTE_PGM_RSRC2:TRAP_HANDLER: 0
; COMPUTE_PGM_RSRC2:TGID_X_EN: 1
; COMPUTE_PGM_RSRC2:TGID_Y_EN: 0
; COMPUTE_PGM_RSRC2:TGID_Z_EN: 0
; COMPUTE_PGM_RSRC2:TIDIG_COMP_CNT: 0
	.section	.text._Z18thread_scan_kernelIjLi4EEvPT_S1_,"axG",@progbits,_Z18thread_scan_kernelIjLi4EEvPT_S1_,comdat
	.protected	_Z18thread_scan_kernelIjLi4EEvPT_S1_ ; -- Begin function _Z18thread_scan_kernelIjLi4EEvPT_S1_
	.globl	_Z18thread_scan_kernelIjLi4EEvPT_S1_
	.p2align	8
	.type	_Z18thread_scan_kernelIjLi4EEvPT_S1_,@function
_Z18thread_scan_kernelIjLi4EEvPT_S1_:   ; @_Z18thread_scan_kernelIjLi4EEvPT_S1_
; %bb.0:
	s_clause 0x1
	s_load_b32 s4, s[0:1], 0x1c
	s_load_b128 s[0:3], s[0:1], 0x0
	v_mov_b32_e32 v1, 0
	s_waitcnt lgkmcnt(0)
	s_and_b32 s4, s4, 0xffff
	s_delay_alu instid0(SALU_CYCLE_1) | instskip(NEXT) | instid1(SALU_CYCLE_1)
	s_mul_i32 s15, s15, s4
	v_add_lshl_u32 v0, s15, v0, 2
	s_delay_alu instid0(VALU_DEP_1) | instskip(NEXT) | instid1(VALU_DEP_1)
	v_lshlrev_b64 v[0:1], 2, v[0:1]
	v_add_co_u32 v2, vcc_lo, s0, v0
	s_delay_alu instid0(VALU_DEP_2)
	v_add_co_ci_u32_e32 v3, vcc_lo, s1, v1, vcc_lo
	v_add_co_u32 v0, vcc_lo, s2, v0
	v_add_co_ci_u32_e32 v1, vcc_lo, s3, v1, vcc_lo
	global_load_b32 v4, v[2:3], off
	s_waitcnt vmcnt(0)
	global_store_b32 v[0:1], v4, off
	global_load_b32 v5, v[2:3], off offset:4
	s_waitcnt vmcnt(0)
	v_add_nc_u32_e32 v4, v5, v4
	global_store_b32 v[0:1], v4, off offset:4
	global_load_b32 v5, v[2:3], off offset:8
	s_waitcnt vmcnt(0)
	v_add_nc_u32_e32 v4, v5, v4
	global_store_b32 v[0:1], v4, off offset:8
	;; [unrolled: 4-line block ×3, first 2 shown]
	s_nop 0
	s_sendmsg sendmsg(MSG_DEALLOC_VGPRS)
	s_endpgm
	.section	.rodata,"a",@progbits
	.p2align	6, 0x0
	.amdhsa_kernel _Z18thread_scan_kernelIjLi4EEvPT_S1_
		.amdhsa_group_segment_fixed_size 0
		.amdhsa_private_segment_fixed_size 0
		.amdhsa_kernarg_size 272
		.amdhsa_user_sgpr_count 15
		.amdhsa_user_sgpr_dispatch_ptr 0
		.amdhsa_user_sgpr_queue_ptr 0
		.amdhsa_user_sgpr_kernarg_segment_ptr 1
		.amdhsa_user_sgpr_dispatch_id 0
		.amdhsa_user_sgpr_private_segment_size 0
		.amdhsa_wavefront_size32 1
		.amdhsa_uses_dynamic_stack 0
		.amdhsa_enable_private_segment 0
		.amdhsa_system_sgpr_workgroup_id_x 1
		.amdhsa_system_sgpr_workgroup_id_y 0
		.amdhsa_system_sgpr_workgroup_id_z 0
		.amdhsa_system_sgpr_workgroup_info 0
		.amdhsa_system_vgpr_workitem_id 0
		.amdhsa_next_free_vgpr 6
		.amdhsa_next_free_sgpr 16
		.amdhsa_reserve_vcc 1
		.amdhsa_float_round_mode_32 0
		.amdhsa_float_round_mode_16_64 0
		.amdhsa_float_denorm_mode_32 3
		.amdhsa_float_denorm_mode_16_64 3
		.amdhsa_dx10_clamp 1
		.amdhsa_ieee_mode 1
		.amdhsa_fp16_overflow 0
		.amdhsa_workgroup_processor_mode 1
		.amdhsa_memory_ordered 1
		.amdhsa_forward_progress 0
		.amdhsa_shared_vgpr_count 0
		.amdhsa_exception_fp_ieee_invalid_op 0
		.amdhsa_exception_fp_denorm_src 0
		.amdhsa_exception_fp_ieee_div_zero 0
		.amdhsa_exception_fp_ieee_overflow 0
		.amdhsa_exception_fp_ieee_underflow 0
		.amdhsa_exception_fp_ieee_inexact 0
		.amdhsa_exception_int_div_zero 0
	.end_amdhsa_kernel
	.section	.text._Z18thread_scan_kernelIjLi4EEvPT_S1_,"axG",@progbits,_Z18thread_scan_kernelIjLi4EEvPT_S1_,comdat
.Lfunc_end57:
	.size	_Z18thread_scan_kernelIjLi4EEvPT_S1_, .Lfunc_end57-_Z18thread_scan_kernelIjLi4EEvPT_S1_
                                        ; -- End function
	.section	.AMDGPU.csdata,"",@progbits
; Kernel info:
; codeLenInByte = 196
; NumSgprs: 18
; NumVgprs: 6
; ScratchSize: 0
; MemoryBound: 0
; FloatMode: 240
; IeeeMode: 1
; LDSByteSize: 0 bytes/workgroup (compile time only)
; SGPRBlocks: 2
; VGPRBlocks: 0
; NumSGPRsForWavesPerEU: 18
; NumVGPRsForWavesPerEU: 6
; Occupancy: 16
; WaveLimiterHint : 0
; COMPUTE_PGM_RSRC2:SCRATCH_EN: 0
; COMPUTE_PGM_RSRC2:USER_SGPR: 15
; COMPUTE_PGM_RSRC2:TRAP_HANDLER: 0
; COMPUTE_PGM_RSRC2:TGID_X_EN: 1
; COMPUTE_PGM_RSRC2:TGID_Y_EN: 0
; COMPUTE_PGM_RSRC2:TGID_Z_EN: 0
; COMPUTE_PGM_RSRC2:TIDIG_COMP_CNT: 0
	.section	.text._Z18thread_scan_kernelItLi4EEvPT_S1_,"axG",@progbits,_Z18thread_scan_kernelItLi4EEvPT_S1_,comdat
	.protected	_Z18thread_scan_kernelItLi4EEvPT_S1_ ; -- Begin function _Z18thread_scan_kernelItLi4EEvPT_S1_
	.globl	_Z18thread_scan_kernelItLi4EEvPT_S1_
	.p2align	8
	.type	_Z18thread_scan_kernelItLi4EEvPT_S1_,@function
_Z18thread_scan_kernelItLi4EEvPT_S1_:   ; @_Z18thread_scan_kernelItLi4EEvPT_S1_
; %bb.0:
	s_clause 0x1
	s_load_b32 s4, s[0:1], 0x1c
	s_load_b128 s[0:3], s[0:1], 0x0
	v_mov_b32_e32 v1, 0
	s_waitcnt lgkmcnt(0)
	s_and_b32 s4, s4, 0xffff
	s_delay_alu instid0(SALU_CYCLE_1) | instskip(NEXT) | instid1(SALU_CYCLE_1)
	s_mul_i32 s15, s15, s4
	v_add_lshl_u32 v0, s15, v0, 2
	s_delay_alu instid0(VALU_DEP_1) | instskip(NEXT) | instid1(VALU_DEP_1)
	v_lshlrev_b64 v[0:1], 1, v[0:1]
	v_add_co_u32 v2, vcc_lo, s0, v0
	s_delay_alu instid0(VALU_DEP_2)
	v_add_co_ci_u32_e32 v3, vcc_lo, s1, v1, vcc_lo
	v_add_co_u32 v0, vcc_lo, s2, v0
	v_add_co_ci_u32_e32 v1, vcc_lo, s3, v1, vcc_lo
	global_load_u16 v4, v[2:3], off
	s_waitcnt vmcnt(0)
	global_store_b16 v[0:1], v4, off
	global_load_u16 v5, v[2:3], off offset:2
	s_waitcnt vmcnt(0)
	v_add_nc_u16 v4, v5, v4
	global_store_b16 v[0:1], v4, off offset:2
	global_load_u16 v5, v[2:3], off offset:4
	s_waitcnt vmcnt(0)
	v_add_nc_u16 v4, v5, v4
	global_store_b16 v[0:1], v4, off offset:4
	global_load_u16 v2, v[2:3], off offset:6
	s_waitcnt vmcnt(0)
	v_add_nc_u16 v2, v2, v4
	global_store_b16 v[0:1], v2, off offset:6
	s_nop 0
	s_sendmsg sendmsg(MSG_DEALLOC_VGPRS)
	s_endpgm
	.section	.rodata,"a",@progbits
	.p2align	6, 0x0
	.amdhsa_kernel _Z18thread_scan_kernelItLi4EEvPT_S1_
		.amdhsa_group_segment_fixed_size 0
		.amdhsa_private_segment_fixed_size 0
		.amdhsa_kernarg_size 272
		.amdhsa_user_sgpr_count 15
		.amdhsa_user_sgpr_dispatch_ptr 0
		.amdhsa_user_sgpr_queue_ptr 0
		.amdhsa_user_sgpr_kernarg_segment_ptr 1
		.amdhsa_user_sgpr_dispatch_id 0
		.amdhsa_user_sgpr_private_segment_size 0
		.amdhsa_wavefront_size32 1
		.amdhsa_uses_dynamic_stack 0
		.amdhsa_enable_private_segment 0
		.amdhsa_system_sgpr_workgroup_id_x 1
		.amdhsa_system_sgpr_workgroup_id_y 0
		.amdhsa_system_sgpr_workgroup_id_z 0
		.amdhsa_system_sgpr_workgroup_info 0
		.amdhsa_system_vgpr_workitem_id 0
		.amdhsa_next_free_vgpr 6
		.amdhsa_next_free_sgpr 16
		.amdhsa_reserve_vcc 1
		.amdhsa_float_round_mode_32 0
		.amdhsa_float_round_mode_16_64 0
		.amdhsa_float_denorm_mode_32 3
		.amdhsa_float_denorm_mode_16_64 3
		.amdhsa_dx10_clamp 1
		.amdhsa_ieee_mode 1
		.amdhsa_fp16_overflow 0
		.amdhsa_workgroup_processor_mode 1
		.amdhsa_memory_ordered 1
		.amdhsa_forward_progress 0
		.amdhsa_shared_vgpr_count 0
		.amdhsa_exception_fp_ieee_invalid_op 0
		.amdhsa_exception_fp_denorm_src 0
		.amdhsa_exception_fp_ieee_div_zero 0
		.amdhsa_exception_fp_ieee_overflow 0
		.amdhsa_exception_fp_ieee_underflow 0
		.amdhsa_exception_fp_ieee_inexact 0
		.amdhsa_exception_int_div_zero 0
	.end_amdhsa_kernel
	.section	.text._Z18thread_scan_kernelItLi4EEvPT_S1_,"axG",@progbits,_Z18thread_scan_kernelItLi4EEvPT_S1_,comdat
.Lfunc_end58:
	.size	_Z18thread_scan_kernelItLi4EEvPT_S1_, .Lfunc_end58-_Z18thread_scan_kernelItLi4EEvPT_S1_
                                        ; -- End function
	.section	.AMDGPU.csdata,"",@progbits
; Kernel info:
; codeLenInByte = 208
; NumSgprs: 18
; NumVgprs: 6
; ScratchSize: 0
; MemoryBound: 0
; FloatMode: 240
; IeeeMode: 1
; LDSByteSize: 0 bytes/workgroup (compile time only)
; SGPRBlocks: 2
; VGPRBlocks: 0
; NumSGPRsForWavesPerEU: 18
; NumVGPRsForWavesPerEU: 6
; Occupancy: 16
; WaveLimiterHint : 0
; COMPUTE_PGM_RSRC2:SCRATCH_EN: 0
; COMPUTE_PGM_RSRC2:USER_SGPR: 15
; COMPUTE_PGM_RSRC2:TRAP_HANDLER: 0
; COMPUTE_PGM_RSRC2:TGID_X_EN: 1
; COMPUTE_PGM_RSRC2:TGID_Y_EN: 0
; COMPUTE_PGM_RSRC2:TGID_Z_EN: 0
; COMPUTE_PGM_RSRC2:TIDIG_COMP_CNT: 0
	.section	.text._Z18thread_scan_kernelIhLi4EEvPT_S1_,"axG",@progbits,_Z18thread_scan_kernelIhLi4EEvPT_S1_,comdat
	.protected	_Z18thread_scan_kernelIhLi4EEvPT_S1_ ; -- Begin function _Z18thread_scan_kernelIhLi4EEvPT_S1_
	.globl	_Z18thread_scan_kernelIhLi4EEvPT_S1_
	.p2align	8
	.type	_Z18thread_scan_kernelIhLi4EEvPT_S1_,@function
_Z18thread_scan_kernelIhLi4EEvPT_S1_:   ; @_Z18thread_scan_kernelIhLi4EEvPT_S1_
; %bb.0:
	s_clause 0x1
	s_load_b32 s4, s[0:1], 0x1c
	s_load_b128 s[0:3], s[0:1], 0x0
	s_waitcnt lgkmcnt(0)
	s_and_b32 s4, s4, 0xffff
	s_delay_alu instid0(SALU_CYCLE_1) | instskip(NEXT) | instid1(SALU_CYCLE_1)
	s_mul_i32 s15, s15, s4
	v_add_lshl_u32 v0, s15, v0, 2
	global_load_u8 v1, v0, s[0:1]
	s_waitcnt vmcnt(0)
	global_store_b8 v0, v1, s[2:3]
	global_load_u8 v2, v0, s[0:1] offset:1
	s_waitcnt vmcnt(0)
	v_add_nc_u16 v1, v2, v1
	global_store_b8 v0, v1, s[2:3] offset:1
	global_load_u8 v2, v0, s[0:1] offset:2
	s_waitcnt vmcnt(0)
	v_add_nc_u16 v1, v2, v1
	global_store_b8 v0, v1, s[2:3] offset:2
	;; [unrolled: 4-line block ×3, first 2 shown]
	s_nop 0
	s_sendmsg sendmsg(MSG_DEALLOC_VGPRS)
	s_endpgm
	.section	.rodata,"a",@progbits
	.p2align	6, 0x0
	.amdhsa_kernel _Z18thread_scan_kernelIhLi4EEvPT_S1_
		.amdhsa_group_segment_fixed_size 0
		.amdhsa_private_segment_fixed_size 0
		.amdhsa_kernarg_size 272
		.amdhsa_user_sgpr_count 15
		.amdhsa_user_sgpr_dispatch_ptr 0
		.amdhsa_user_sgpr_queue_ptr 0
		.amdhsa_user_sgpr_kernarg_segment_ptr 1
		.amdhsa_user_sgpr_dispatch_id 0
		.amdhsa_user_sgpr_private_segment_size 0
		.amdhsa_wavefront_size32 1
		.amdhsa_uses_dynamic_stack 0
		.amdhsa_enable_private_segment 0
		.amdhsa_system_sgpr_workgroup_id_x 1
		.amdhsa_system_sgpr_workgroup_id_y 0
		.amdhsa_system_sgpr_workgroup_id_z 0
		.amdhsa_system_sgpr_workgroup_info 0
		.amdhsa_system_vgpr_workitem_id 0
		.amdhsa_next_free_vgpr 3
		.amdhsa_next_free_sgpr 16
		.amdhsa_reserve_vcc 0
		.amdhsa_float_round_mode_32 0
		.amdhsa_float_round_mode_16_64 0
		.amdhsa_float_denorm_mode_32 3
		.amdhsa_float_denorm_mode_16_64 3
		.amdhsa_dx10_clamp 1
		.amdhsa_ieee_mode 1
		.amdhsa_fp16_overflow 0
		.amdhsa_workgroup_processor_mode 1
		.amdhsa_memory_ordered 1
		.amdhsa_forward_progress 0
		.amdhsa_shared_vgpr_count 0
		.amdhsa_exception_fp_ieee_invalid_op 0
		.amdhsa_exception_fp_denorm_src 0
		.amdhsa_exception_fp_ieee_div_zero 0
		.amdhsa_exception_fp_ieee_overflow 0
		.amdhsa_exception_fp_ieee_underflow 0
		.amdhsa_exception_fp_ieee_inexact 0
		.amdhsa_exception_int_div_zero 0
	.end_amdhsa_kernel
	.section	.text._Z18thread_scan_kernelIhLi4EEvPT_S1_,"axG",@progbits,_Z18thread_scan_kernelIhLi4EEvPT_S1_,comdat
.Lfunc_end59:
	.size	_Z18thread_scan_kernelIhLi4EEvPT_S1_, .Lfunc_end59-_Z18thread_scan_kernelIhLi4EEvPT_S1_
                                        ; -- End function
	.section	.AMDGPU.csdata,"",@progbits
; Kernel info:
; codeLenInByte = 164
; NumSgprs: 16
; NumVgprs: 3
; ScratchSize: 0
; MemoryBound: 0
; FloatMode: 240
; IeeeMode: 1
; LDSByteSize: 0 bytes/workgroup (compile time only)
; SGPRBlocks: 1
; VGPRBlocks: 0
; NumSGPRsForWavesPerEU: 16
; NumVGPRsForWavesPerEU: 3
; Occupancy: 16
; WaveLimiterHint : 0
; COMPUTE_PGM_RSRC2:SCRATCH_EN: 0
; COMPUTE_PGM_RSRC2:USER_SGPR: 15
; COMPUTE_PGM_RSRC2:TRAP_HANDLER: 0
; COMPUTE_PGM_RSRC2:TGID_X_EN: 1
; COMPUTE_PGM_RSRC2:TGID_Y_EN: 0
; COMPUTE_PGM_RSRC2:TGID_Z_EN: 0
; COMPUTE_PGM_RSRC2:TIDIG_COMP_CNT: 0
	.section	.text._Z20thread_search_kernelIojN7rocprim17ROCPRIM_304000_NS4lessIoEETnT0_Lj4EEvPT_S6_PS4_S7_S4_S4_T1_,"axG",@progbits,_Z20thread_search_kernelIojN7rocprim17ROCPRIM_304000_NS4lessIoEETnT0_Lj4EEvPT_S6_PS4_S7_S4_S4_T1_,comdat
	.protected	_Z20thread_search_kernelIojN7rocprim17ROCPRIM_304000_NS4lessIoEETnT0_Lj4EEvPT_S6_PS4_S7_S4_S4_T1_ ; -- Begin function _Z20thread_search_kernelIojN7rocprim17ROCPRIM_304000_NS4lessIoEETnT0_Lj4EEvPT_S6_PS4_S7_S4_S4_T1_
	.globl	_Z20thread_search_kernelIojN7rocprim17ROCPRIM_304000_NS4lessIoEETnT0_Lj4EEvPT_S6_PS4_S7_S4_S4_T1_
	.p2align	8
	.type	_Z20thread_search_kernelIojN7rocprim17ROCPRIM_304000_NS4lessIoEETnT0_Lj4EEvPT_S6_PS4_S7_S4_S4_T1_,@function
_Z20thread_search_kernelIojN7rocprim17ROCPRIM_304000_NS4lessIoEETnT0_Lj4EEvPT_S6_PS4_S7_S4_S4_T1_: ; @_Z20thread_search_kernelIojN7rocprim17ROCPRIM_304000_NS4lessIoEETnT0_Lj4EEvPT_S6_PS4_S7_S4_S4_T1_
; %bb.0:
	s_clause 0x1
	s_load_b32 s2, s[0:1], 0x3c
	s_load_b64 s[8:9], s[0:1], 0x20
	s_waitcnt lgkmcnt(0)
	s_and_b32 s2, s2, 0xffff
	s_delay_alu instid0(SALU_CYCLE_1) | instskip(SKIP_1) | instid1(VALU_DEP_1)
	v_mad_u64_u32 v[1:2], null, s15, s2, v[0:1]
	s_load_b256 s[0:7], s[0:1], 0x0
	v_lshlrev_b32_e32 v0, 2, v1
	s_delay_alu instid0(VALU_DEP_1) | instskip(SKIP_2) | instid1(VALU_DEP_1)
	v_sub_nc_u32_e64 v4, v0, s9 clamp
	v_min_u32_e32 v5, s8, v0
	s_mov_b32 s9, exec_lo
	v_cmpx_lt_u32_e64 v4, v5
	s_cbranch_execz .LBB60_4
; %bb.1:
	v_mov_b32_e32 v3, 0
	s_mov_b32 s10, 0
	s_set_inst_prefetch_distance 0x1
	.p2align	6
.LBB60_2:                               ; =>This Inner Loop Header: Depth=1
	s_delay_alu instid0(VALU_DEP_1) | instskip(NEXT) | instid1(VALU_DEP_1)
	v_dual_mov_b32 v7, v3 :: v_dual_add_nc_u32 v2, v5, v4
	v_lshrrev_b32_e32 v2, 1, v2
	s_delay_alu instid0(VALU_DEP_1) | instskip(SKIP_1) | instid1(VALU_DEP_2)
	v_xad_u32 v6, v2, -1, v0
	v_lshlrev_b64 v[8:9], 4, v[2:3]
	v_lshlrev_b64 v[6:7], 4, v[6:7]
	s_waitcnt lgkmcnt(0)
	s_delay_alu instid0(VALU_DEP_2) | instskip(NEXT) | instid1(VALU_DEP_3)
	v_add_co_u32 v8, vcc_lo, s0, v8
	v_add_co_ci_u32_e32 v9, vcc_lo, s1, v9, vcc_lo
	s_delay_alu instid0(VALU_DEP_3) | instskip(NEXT) | instid1(VALU_DEP_4)
	v_add_co_u32 v10, vcc_lo, s2, v6
	v_add_co_ci_u32_e32 v11, vcc_lo, s3, v7, vcc_lo
	global_load_b128 v[6:9], v[8:9], off
	global_load_b128 v[10:13], v[10:11], off
	s_waitcnt vmcnt(0)
	v_cmp_lt_u64_e32 vcc_lo, v[10:11], v[6:7]
	v_cndmask_b32_e64 v6, 0, 1, vcc_lo
	v_cmp_lt_u64_e32 vcc_lo, v[12:13], v[8:9]
	v_cndmask_b32_e64 v7, 0, 1, vcc_lo
	v_cmp_eq_u64_e32 vcc_lo, v[12:13], v[8:9]
	s_delay_alu instid0(VALU_DEP_2) | instskip(SKIP_1) | instid1(VALU_DEP_2)
	v_cndmask_b32_e32 v6, v7, v6, vcc_lo
	v_add_nc_u32_e32 v7, 1, v2
	v_and_b32_e32 v6, 1, v6
	s_delay_alu instid0(VALU_DEP_1) | instskip(NEXT) | instid1(VALU_DEP_3)
	v_cmp_eq_u32_e32 vcc_lo, 1, v6
	v_dual_cndmask_b32 v5, v5, v2 :: v_dual_cndmask_b32 v4, v7, v4
	s_delay_alu instid0(VALU_DEP_1) | instskip(SKIP_1) | instid1(SALU_CYCLE_1)
	v_cmp_ge_u32_e32 vcc_lo, v4, v5
	s_or_b32 s10, vcc_lo, s10
	s_and_not1_b32 exec_lo, exec_lo, s10
	s_cbranch_execnz .LBB60_2
; %bb.3:
	s_set_inst_prefetch_distance 0x2
	s_or_b32 exec_lo, exec_lo, s10
.LBB60_4:
	s_delay_alu instid0(SALU_CYCLE_1) | instskip(SKIP_3) | instid1(VALU_DEP_3)
	s_or_b32 exec_lo, exec_lo, s9
	v_mov_b32_e32 v2, 0
	v_min_u32_e32 v5, s8, v4
	v_sub_nc_u32_e32 v6, v0, v4
	v_lshlrev_b64 v[1:2], 2, v[1:2]
	s_waitcnt lgkmcnt(0)
	s_delay_alu instid0(VALU_DEP_1) | instskip(NEXT) | instid1(VALU_DEP_2)
	v_add_co_u32 v3, vcc_lo, s4, v1
	v_add_co_ci_u32_e32 v4, vcc_lo, s5, v2, vcc_lo
	v_add_co_u32 v0, vcc_lo, s6, v1
	v_add_co_ci_u32_e32 v1, vcc_lo, s7, v2, vcc_lo
	global_store_b32 v[3:4], v5, off
	global_store_b32 v[0:1], v6, off
	s_nop 0
	s_sendmsg sendmsg(MSG_DEALLOC_VGPRS)
	s_endpgm
	.section	.rodata,"a",@progbits
	.p2align	6, 0x0
	.amdhsa_kernel _Z20thread_search_kernelIojN7rocprim17ROCPRIM_304000_NS4lessIoEETnT0_Lj4EEvPT_S6_PS4_S7_S4_S4_T1_
		.amdhsa_group_segment_fixed_size 0
		.amdhsa_private_segment_fixed_size 0
		.amdhsa_kernarg_size 304
		.amdhsa_user_sgpr_count 15
		.amdhsa_user_sgpr_dispatch_ptr 0
		.amdhsa_user_sgpr_queue_ptr 0
		.amdhsa_user_sgpr_kernarg_segment_ptr 1
		.amdhsa_user_sgpr_dispatch_id 0
		.amdhsa_user_sgpr_private_segment_size 0
		.amdhsa_wavefront_size32 1
		.amdhsa_uses_dynamic_stack 0
		.amdhsa_enable_private_segment 0
		.amdhsa_system_sgpr_workgroup_id_x 1
		.amdhsa_system_sgpr_workgroup_id_y 0
		.amdhsa_system_sgpr_workgroup_id_z 0
		.amdhsa_system_sgpr_workgroup_info 0
		.amdhsa_system_vgpr_workitem_id 0
		.amdhsa_next_free_vgpr 14
		.amdhsa_next_free_sgpr 16
		.amdhsa_reserve_vcc 1
		.amdhsa_float_round_mode_32 0
		.amdhsa_float_round_mode_16_64 0
		.amdhsa_float_denorm_mode_32 3
		.amdhsa_float_denorm_mode_16_64 3
		.amdhsa_dx10_clamp 1
		.amdhsa_ieee_mode 1
		.amdhsa_fp16_overflow 0
		.amdhsa_workgroup_processor_mode 1
		.amdhsa_memory_ordered 1
		.amdhsa_forward_progress 0
		.amdhsa_shared_vgpr_count 0
		.amdhsa_exception_fp_ieee_invalid_op 0
		.amdhsa_exception_fp_denorm_src 0
		.amdhsa_exception_fp_ieee_div_zero 0
		.amdhsa_exception_fp_ieee_overflow 0
		.amdhsa_exception_fp_ieee_underflow 0
		.amdhsa_exception_fp_ieee_inexact 0
		.amdhsa_exception_int_div_zero 0
	.end_amdhsa_kernel
	.section	.text._Z20thread_search_kernelIojN7rocprim17ROCPRIM_304000_NS4lessIoEETnT0_Lj4EEvPT_S6_PS4_S7_S4_S4_T1_,"axG",@progbits,_Z20thread_search_kernelIojN7rocprim17ROCPRIM_304000_NS4lessIoEETnT0_Lj4EEvPT_S6_PS4_S7_S4_S4_T1_,comdat
.Lfunc_end60:
	.size	_Z20thread_search_kernelIojN7rocprim17ROCPRIM_304000_NS4lessIoEETnT0_Lj4EEvPT_S6_PS4_S7_S4_S4_T1_, .Lfunc_end60-_Z20thread_search_kernelIojN7rocprim17ROCPRIM_304000_NS4lessIoEETnT0_Lj4EEvPT_S6_PS4_S7_S4_S4_T1_
                                        ; -- End function
	.section	.AMDGPU.csdata,"",@progbits
; Kernel info:
; codeLenInByte = 376
; NumSgprs: 18
; NumVgprs: 14
; ScratchSize: 0
; MemoryBound: 0
; FloatMode: 240
; IeeeMode: 1
; LDSByteSize: 0 bytes/workgroup (compile time only)
; SGPRBlocks: 2
; VGPRBlocks: 1
; NumSGPRsForWavesPerEU: 18
; NumVGPRsForWavesPerEU: 14
; Occupancy: 16
; WaveLimiterHint : 0
; COMPUTE_PGM_RSRC2:SCRATCH_EN: 0
; COMPUTE_PGM_RSRC2:USER_SGPR: 15
; COMPUTE_PGM_RSRC2:TRAP_HANDLER: 0
; COMPUTE_PGM_RSRC2:TGID_X_EN: 1
; COMPUTE_PGM_RSRC2:TGID_Y_EN: 0
; COMPUTE_PGM_RSRC2:TGID_Z_EN: 0
; COMPUTE_PGM_RSRC2:TIDIG_COMP_CNT: 0
	.section	.text._Z34thread_search_out_of_bounds_kernelIojN7rocprim17ROCPRIM_304000_NS4lessIoEEEvPT_S5_PT0_S7_S6_S6_T1_,"axG",@progbits,_Z34thread_search_out_of_bounds_kernelIojN7rocprim17ROCPRIM_304000_NS4lessIoEEEvPT_S5_PT0_S7_S6_S6_T1_,comdat
	.protected	_Z34thread_search_out_of_bounds_kernelIojN7rocprim17ROCPRIM_304000_NS4lessIoEEEvPT_S5_PT0_S7_S6_S6_T1_ ; -- Begin function _Z34thread_search_out_of_bounds_kernelIojN7rocprim17ROCPRIM_304000_NS4lessIoEEEvPT_S5_PT0_S7_S6_S6_T1_
	.globl	_Z34thread_search_out_of_bounds_kernelIojN7rocprim17ROCPRIM_304000_NS4lessIoEEEvPT_S5_PT0_S7_S6_S6_T1_
	.p2align	8
	.type	_Z34thread_search_out_of_bounds_kernelIojN7rocprim17ROCPRIM_304000_NS4lessIoEEEvPT_S5_PT0_S7_S6_S6_T1_,@function
_Z34thread_search_out_of_bounds_kernelIojN7rocprim17ROCPRIM_304000_NS4lessIoEEEvPT_S5_PT0_S7_S6_S6_T1_: ; @_Z34thread_search_out_of_bounds_kernelIojN7rocprim17ROCPRIM_304000_NS4lessIoEEEvPT_S5_PT0_S7_S6_S6_T1_
; %bb.0:
	s_clause 0x1
	s_load_b64 s[8:9], s[0:1], 0x20
	s_load_b256 s[0:7], s[0:1], 0x0
	s_waitcnt lgkmcnt(0)
	s_add_i32 s13, s9, s8
	s_delay_alu instid0(SALU_CYCLE_1) | instskip(NEXT) | instid1(SALU_CYCLE_1)
	s_add_i32 s12, s13, 1
	v_sub_nc_u32_e64 v0, s12, s9 clamp
	s_min_u32 s14, s12, s8
	s_delay_alu instid0(VALU_DEP_1) | instid1(SALU_CYCLE_1)
	v_cmp_le_u32_e32 vcc_lo, s14, v0
	v_readfirstlane_b32 s9, v0
	s_cbranch_vccnz .LBB61_3
; %bb.1:
	s_mov_b32 s11, 0
	s_set_inst_prefetch_distance 0x1
	.p2align	6
.LBB61_2:                               ; =>This Inner Loop Header: Depth=1
	s_delay_alu instid0(VALU_DEP_1) | instskip(SKIP_2) | instid1(SALU_CYCLE_1)
	s_add_i32 s10, s14, s9
	s_mov_b32 s17, s11
	s_lshr_b32 s10, s10, 1
	s_lshl_b64 s[18:19], s[10:11], 4
	s_sub_i32 s16, s13, s10
	s_add_u32 s18, s0, s18
	s_addc_u32 s19, s1, s19
	s_lshl_b64 s[20:21], s[16:17], 4
	s_load_b128 s[16:19], s[18:19], 0x0
	s_add_u32 s20, s2, s20
	s_addc_u32 s21, s3, s21
	s_load_b128 s[20:23], s[20:21], 0x0
	s_waitcnt lgkmcnt(0)
	v_cmp_lt_u64_e64 s15, s[20:21], s[16:17]
	s_cmp_eq_u64 s[22:23], s[18:19]
	s_cselect_b32 vcc_lo, -1, 0
	s_add_i32 s16, s10, 1
	s_delay_alu instid0(VALU_DEP_1) | instskip(SKIP_1) | instid1(VALU_DEP_1)
	v_cndmask_b32_e64 v0, 0, 1, s15
	v_cmp_lt_u64_e64 s15, s[22:23], s[18:19]
	v_cndmask_b32_e64 v1, 0, 1, s15
	s_delay_alu instid0(VALU_DEP_1) | instskip(NEXT) | instid1(VALU_DEP_1)
	v_cndmask_b32_e32 v0, v1, v0, vcc_lo
	v_readfirstlane_b32 s15, v0
	s_delay_alu instid0(VALU_DEP_1) | instskip(NEXT) | instid1(SALU_CYCLE_1)
	s_and_b32 s15, 1, s15
	s_cmp_eq_u32 s15, 1
	s_cselect_b32 s14, s10, s14
	s_cselect_b32 s9, s9, s16
	s_delay_alu instid0(SALU_CYCLE_1)
	s_cmp_lt_u32 s9, s14
	s_cbranch_scc1 .LBB61_2
.LBB61_3:
	s_set_inst_prefetch_distance 0x2
	s_delay_alu instid0(VALU_DEP_1)
	s_min_u32 s0, s9, s8
	s_sub_i32 s1, s12, s9
	v_dual_mov_b32 v0, 0 :: v_dual_mov_b32 v1, s0
	v_mov_b32_e32 v2, s1
	s_clause 0x1
	global_store_b32 v0, v1, s[4:5]
	global_store_b32 v0, v2, s[6:7]
	s_nop 0
	s_sendmsg sendmsg(MSG_DEALLOC_VGPRS)
	s_endpgm
	.section	.rodata,"a",@progbits
	.p2align	6, 0x0
	.amdhsa_kernel _Z34thread_search_out_of_bounds_kernelIojN7rocprim17ROCPRIM_304000_NS4lessIoEEEvPT_S5_PT0_S7_S6_S6_T1_
		.amdhsa_group_segment_fixed_size 0
		.amdhsa_private_segment_fixed_size 0
		.amdhsa_kernarg_size 44
		.amdhsa_user_sgpr_count 15
		.amdhsa_user_sgpr_dispatch_ptr 0
		.amdhsa_user_sgpr_queue_ptr 0
		.amdhsa_user_sgpr_kernarg_segment_ptr 1
		.amdhsa_user_sgpr_dispatch_id 0
		.amdhsa_user_sgpr_private_segment_size 0
		.amdhsa_wavefront_size32 1
		.amdhsa_uses_dynamic_stack 0
		.amdhsa_enable_private_segment 0
		.amdhsa_system_sgpr_workgroup_id_x 1
		.amdhsa_system_sgpr_workgroup_id_y 0
		.amdhsa_system_sgpr_workgroup_id_z 0
		.amdhsa_system_sgpr_workgroup_info 0
		.amdhsa_system_vgpr_workitem_id 0
		.amdhsa_next_free_vgpr 3
		.amdhsa_next_free_sgpr 24
		.amdhsa_reserve_vcc 1
		.amdhsa_float_round_mode_32 0
		.amdhsa_float_round_mode_16_64 0
		.amdhsa_float_denorm_mode_32 3
		.amdhsa_float_denorm_mode_16_64 3
		.amdhsa_dx10_clamp 1
		.amdhsa_ieee_mode 1
		.amdhsa_fp16_overflow 0
		.amdhsa_workgroup_processor_mode 1
		.amdhsa_memory_ordered 1
		.amdhsa_forward_progress 0
		.amdhsa_shared_vgpr_count 0
		.amdhsa_exception_fp_ieee_invalid_op 0
		.amdhsa_exception_fp_denorm_src 0
		.amdhsa_exception_fp_ieee_div_zero 0
		.amdhsa_exception_fp_ieee_overflow 0
		.amdhsa_exception_fp_ieee_underflow 0
		.amdhsa_exception_fp_ieee_inexact 0
		.amdhsa_exception_int_div_zero 0
	.end_amdhsa_kernel
	.section	.text._Z34thread_search_out_of_bounds_kernelIojN7rocprim17ROCPRIM_304000_NS4lessIoEEEvPT_S5_PT0_S7_S6_S6_T1_,"axG",@progbits,_Z34thread_search_out_of_bounds_kernelIojN7rocprim17ROCPRIM_304000_NS4lessIoEEEvPT_S5_PT0_S7_S6_S6_T1_,comdat
.Lfunc_end61:
	.size	_Z34thread_search_out_of_bounds_kernelIojN7rocprim17ROCPRIM_304000_NS4lessIoEEEvPT_S5_PT0_S7_S6_S6_T1_, .Lfunc_end61-_Z34thread_search_out_of_bounds_kernelIojN7rocprim17ROCPRIM_304000_NS4lessIoEEEvPT_S5_PT0_S7_S6_S6_T1_
                                        ; -- End function
	.section	.AMDGPU.csdata,"",@progbits
; Kernel info:
; codeLenInByte = 288
; NumSgprs: 26
; NumVgprs: 3
; ScratchSize: 0
; MemoryBound: 0
; FloatMode: 240
; IeeeMode: 1
; LDSByteSize: 0 bytes/workgroup (compile time only)
; SGPRBlocks: 3
; VGPRBlocks: 0
; NumSGPRsForWavesPerEU: 26
; NumVGPRsForWavesPerEU: 3
; Occupancy: 16
; WaveLimiterHint : 0
; COMPUTE_PGM_RSRC2:SCRATCH_EN: 0
; COMPUTE_PGM_RSRC2:USER_SGPR: 15
; COMPUTE_PGM_RSRC2:TRAP_HANDLER: 0
; COMPUTE_PGM_RSRC2:TGID_X_EN: 1
; COMPUTE_PGM_RSRC2:TGID_Y_EN: 0
; COMPUTE_PGM_RSRC2:TGID_Z_EN: 0
; COMPUTE_PGM_RSRC2:TIDIG_COMP_CNT: 0
	.section	.text._Z20thread_search_kernelIojN7rocprim17ROCPRIM_304000_NS7greaterIoEETnT0_Lj4EEvPT_S6_PS4_S7_S4_S4_T1_,"axG",@progbits,_Z20thread_search_kernelIojN7rocprim17ROCPRIM_304000_NS7greaterIoEETnT0_Lj4EEvPT_S6_PS4_S7_S4_S4_T1_,comdat
	.protected	_Z20thread_search_kernelIojN7rocprim17ROCPRIM_304000_NS7greaterIoEETnT0_Lj4EEvPT_S6_PS4_S7_S4_S4_T1_ ; -- Begin function _Z20thread_search_kernelIojN7rocprim17ROCPRIM_304000_NS7greaterIoEETnT0_Lj4EEvPT_S6_PS4_S7_S4_S4_T1_
	.globl	_Z20thread_search_kernelIojN7rocprim17ROCPRIM_304000_NS7greaterIoEETnT0_Lj4EEvPT_S6_PS4_S7_S4_S4_T1_
	.p2align	8
	.type	_Z20thread_search_kernelIojN7rocprim17ROCPRIM_304000_NS7greaterIoEETnT0_Lj4EEvPT_S6_PS4_S7_S4_S4_T1_,@function
_Z20thread_search_kernelIojN7rocprim17ROCPRIM_304000_NS7greaterIoEETnT0_Lj4EEvPT_S6_PS4_S7_S4_S4_T1_: ; @_Z20thread_search_kernelIojN7rocprim17ROCPRIM_304000_NS7greaterIoEETnT0_Lj4EEvPT_S6_PS4_S7_S4_S4_T1_
; %bb.0:
	s_clause 0x1
	s_load_b32 s2, s[0:1], 0x3c
	s_load_b64 s[8:9], s[0:1], 0x20
	s_waitcnt lgkmcnt(0)
	s_and_b32 s2, s2, 0xffff
	s_delay_alu instid0(SALU_CYCLE_1) | instskip(SKIP_1) | instid1(VALU_DEP_1)
	v_mad_u64_u32 v[1:2], null, s15, s2, v[0:1]
	s_load_b256 s[0:7], s[0:1], 0x0
	v_lshlrev_b32_e32 v0, 2, v1
	s_delay_alu instid0(VALU_DEP_1) | instskip(SKIP_2) | instid1(VALU_DEP_1)
	v_sub_nc_u32_e64 v4, v0, s9 clamp
	v_min_u32_e32 v5, s8, v0
	s_mov_b32 s9, exec_lo
	v_cmpx_lt_u32_e64 v4, v5
	s_cbranch_execz .LBB62_4
; %bb.1:
	v_mov_b32_e32 v3, 0
	s_mov_b32 s10, 0
	s_set_inst_prefetch_distance 0x1
	.p2align	6
.LBB62_2:                               ; =>This Inner Loop Header: Depth=1
	s_delay_alu instid0(VALU_DEP_1) | instskip(NEXT) | instid1(VALU_DEP_1)
	v_dual_mov_b32 v7, v3 :: v_dual_add_nc_u32 v2, v5, v4
	v_lshrrev_b32_e32 v2, 1, v2
	s_delay_alu instid0(VALU_DEP_1) | instskip(SKIP_1) | instid1(VALU_DEP_2)
	v_xad_u32 v6, v2, -1, v0
	v_lshlrev_b64 v[8:9], 4, v[2:3]
	v_lshlrev_b64 v[6:7], 4, v[6:7]
	s_waitcnt lgkmcnt(0)
	s_delay_alu instid0(VALU_DEP_2) | instskip(NEXT) | instid1(VALU_DEP_3)
	v_add_co_u32 v8, vcc_lo, s0, v8
	v_add_co_ci_u32_e32 v9, vcc_lo, s1, v9, vcc_lo
	s_delay_alu instid0(VALU_DEP_3) | instskip(NEXT) | instid1(VALU_DEP_4)
	v_add_co_u32 v10, vcc_lo, s2, v6
	v_add_co_ci_u32_e32 v11, vcc_lo, s3, v7, vcc_lo
	global_load_b128 v[6:9], v[8:9], off
	global_load_b128 v[10:13], v[10:11], off
	s_waitcnt vmcnt(0)
	v_cmp_gt_u64_e32 vcc_lo, v[10:11], v[6:7]
	v_cndmask_b32_e64 v6, 0, 1, vcc_lo
	v_cmp_gt_u64_e32 vcc_lo, v[12:13], v[8:9]
	v_cndmask_b32_e64 v7, 0, 1, vcc_lo
	v_cmp_eq_u64_e32 vcc_lo, v[12:13], v[8:9]
	s_delay_alu instid0(VALU_DEP_2) | instskip(SKIP_1) | instid1(VALU_DEP_2)
	v_cndmask_b32_e32 v6, v7, v6, vcc_lo
	v_add_nc_u32_e32 v7, 1, v2
	v_and_b32_e32 v6, 1, v6
	s_delay_alu instid0(VALU_DEP_1) | instskip(NEXT) | instid1(VALU_DEP_3)
	v_cmp_eq_u32_e32 vcc_lo, 1, v6
	v_dual_cndmask_b32 v5, v5, v2 :: v_dual_cndmask_b32 v4, v7, v4
	s_delay_alu instid0(VALU_DEP_1) | instskip(SKIP_1) | instid1(SALU_CYCLE_1)
	v_cmp_ge_u32_e32 vcc_lo, v4, v5
	s_or_b32 s10, vcc_lo, s10
	s_and_not1_b32 exec_lo, exec_lo, s10
	s_cbranch_execnz .LBB62_2
; %bb.3:
	s_set_inst_prefetch_distance 0x2
	s_or_b32 exec_lo, exec_lo, s10
.LBB62_4:
	s_delay_alu instid0(SALU_CYCLE_1) | instskip(SKIP_3) | instid1(VALU_DEP_3)
	s_or_b32 exec_lo, exec_lo, s9
	v_mov_b32_e32 v2, 0
	v_min_u32_e32 v5, s8, v4
	v_sub_nc_u32_e32 v6, v0, v4
	v_lshlrev_b64 v[1:2], 2, v[1:2]
	s_waitcnt lgkmcnt(0)
	s_delay_alu instid0(VALU_DEP_1) | instskip(NEXT) | instid1(VALU_DEP_2)
	v_add_co_u32 v3, vcc_lo, s4, v1
	v_add_co_ci_u32_e32 v4, vcc_lo, s5, v2, vcc_lo
	v_add_co_u32 v0, vcc_lo, s6, v1
	v_add_co_ci_u32_e32 v1, vcc_lo, s7, v2, vcc_lo
	global_store_b32 v[3:4], v5, off
	global_store_b32 v[0:1], v6, off
	s_nop 0
	s_sendmsg sendmsg(MSG_DEALLOC_VGPRS)
	s_endpgm
	.section	.rodata,"a",@progbits
	.p2align	6, 0x0
	.amdhsa_kernel _Z20thread_search_kernelIojN7rocprim17ROCPRIM_304000_NS7greaterIoEETnT0_Lj4EEvPT_S6_PS4_S7_S4_S4_T1_
		.amdhsa_group_segment_fixed_size 0
		.amdhsa_private_segment_fixed_size 0
		.amdhsa_kernarg_size 304
		.amdhsa_user_sgpr_count 15
		.amdhsa_user_sgpr_dispatch_ptr 0
		.amdhsa_user_sgpr_queue_ptr 0
		.amdhsa_user_sgpr_kernarg_segment_ptr 1
		.amdhsa_user_sgpr_dispatch_id 0
		.amdhsa_user_sgpr_private_segment_size 0
		.amdhsa_wavefront_size32 1
		.amdhsa_uses_dynamic_stack 0
		.amdhsa_enable_private_segment 0
		.amdhsa_system_sgpr_workgroup_id_x 1
		.amdhsa_system_sgpr_workgroup_id_y 0
		.amdhsa_system_sgpr_workgroup_id_z 0
		.amdhsa_system_sgpr_workgroup_info 0
		.amdhsa_system_vgpr_workitem_id 0
		.amdhsa_next_free_vgpr 14
		.amdhsa_next_free_sgpr 16
		.amdhsa_reserve_vcc 1
		.amdhsa_float_round_mode_32 0
		.amdhsa_float_round_mode_16_64 0
		.amdhsa_float_denorm_mode_32 3
		.amdhsa_float_denorm_mode_16_64 3
		.amdhsa_dx10_clamp 1
		.amdhsa_ieee_mode 1
		.amdhsa_fp16_overflow 0
		.amdhsa_workgroup_processor_mode 1
		.amdhsa_memory_ordered 1
		.amdhsa_forward_progress 0
		.amdhsa_shared_vgpr_count 0
		.amdhsa_exception_fp_ieee_invalid_op 0
		.amdhsa_exception_fp_denorm_src 0
		.amdhsa_exception_fp_ieee_div_zero 0
		.amdhsa_exception_fp_ieee_overflow 0
		.amdhsa_exception_fp_ieee_underflow 0
		.amdhsa_exception_fp_ieee_inexact 0
		.amdhsa_exception_int_div_zero 0
	.end_amdhsa_kernel
	.section	.text._Z20thread_search_kernelIojN7rocprim17ROCPRIM_304000_NS7greaterIoEETnT0_Lj4EEvPT_S6_PS4_S7_S4_S4_T1_,"axG",@progbits,_Z20thread_search_kernelIojN7rocprim17ROCPRIM_304000_NS7greaterIoEETnT0_Lj4EEvPT_S6_PS4_S7_S4_S4_T1_,comdat
.Lfunc_end62:
	.size	_Z20thread_search_kernelIojN7rocprim17ROCPRIM_304000_NS7greaterIoEETnT0_Lj4EEvPT_S6_PS4_S7_S4_S4_T1_, .Lfunc_end62-_Z20thread_search_kernelIojN7rocprim17ROCPRIM_304000_NS7greaterIoEETnT0_Lj4EEvPT_S6_PS4_S7_S4_S4_T1_
                                        ; -- End function
	.section	.AMDGPU.csdata,"",@progbits
; Kernel info:
; codeLenInByte = 376
; NumSgprs: 18
; NumVgprs: 14
; ScratchSize: 0
; MemoryBound: 0
; FloatMode: 240
; IeeeMode: 1
; LDSByteSize: 0 bytes/workgroup (compile time only)
; SGPRBlocks: 2
; VGPRBlocks: 1
; NumSGPRsForWavesPerEU: 18
; NumVGPRsForWavesPerEU: 14
; Occupancy: 16
; WaveLimiterHint : 0
; COMPUTE_PGM_RSRC2:SCRATCH_EN: 0
; COMPUTE_PGM_RSRC2:USER_SGPR: 15
; COMPUTE_PGM_RSRC2:TRAP_HANDLER: 0
; COMPUTE_PGM_RSRC2:TGID_X_EN: 1
; COMPUTE_PGM_RSRC2:TGID_Y_EN: 0
; COMPUTE_PGM_RSRC2:TGID_Z_EN: 0
; COMPUTE_PGM_RSRC2:TIDIG_COMP_CNT: 0
	.section	.text._Z34thread_search_out_of_bounds_kernelIojN7rocprim17ROCPRIM_304000_NS7greaterIoEEEvPT_S5_PT0_S7_S6_S6_T1_,"axG",@progbits,_Z34thread_search_out_of_bounds_kernelIojN7rocprim17ROCPRIM_304000_NS7greaterIoEEEvPT_S5_PT0_S7_S6_S6_T1_,comdat
	.protected	_Z34thread_search_out_of_bounds_kernelIojN7rocprim17ROCPRIM_304000_NS7greaterIoEEEvPT_S5_PT0_S7_S6_S6_T1_ ; -- Begin function _Z34thread_search_out_of_bounds_kernelIojN7rocprim17ROCPRIM_304000_NS7greaterIoEEEvPT_S5_PT0_S7_S6_S6_T1_
	.globl	_Z34thread_search_out_of_bounds_kernelIojN7rocprim17ROCPRIM_304000_NS7greaterIoEEEvPT_S5_PT0_S7_S6_S6_T1_
	.p2align	8
	.type	_Z34thread_search_out_of_bounds_kernelIojN7rocprim17ROCPRIM_304000_NS7greaterIoEEEvPT_S5_PT0_S7_S6_S6_T1_,@function
_Z34thread_search_out_of_bounds_kernelIojN7rocprim17ROCPRIM_304000_NS7greaterIoEEEvPT_S5_PT0_S7_S6_S6_T1_: ; @_Z34thread_search_out_of_bounds_kernelIojN7rocprim17ROCPRIM_304000_NS7greaterIoEEEvPT_S5_PT0_S7_S6_S6_T1_
; %bb.0:
	s_clause 0x1
	s_load_b64 s[8:9], s[0:1], 0x20
	s_load_b256 s[0:7], s[0:1], 0x0
	s_waitcnt lgkmcnt(0)
	s_add_i32 s13, s9, s8
	s_delay_alu instid0(SALU_CYCLE_1) | instskip(NEXT) | instid1(SALU_CYCLE_1)
	s_add_i32 s12, s13, 1
	v_sub_nc_u32_e64 v0, s12, s9 clamp
	s_min_u32 s14, s12, s8
	s_delay_alu instid0(VALU_DEP_1) | instid1(SALU_CYCLE_1)
	v_cmp_le_u32_e32 vcc_lo, s14, v0
	v_readfirstlane_b32 s9, v0
	s_cbranch_vccnz .LBB63_3
; %bb.1:
	s_mov_b32 s11, 0
	s_set_inst_prefetch_distance 0x1
	.p2align	6
.LBB63_2:                               ; =>This Inner Loop Header: Depth=1
	s_delay_alu instid0(VALU_DEP_1) | instskip(SKIP_2) | instid1(SALU_CYCLE_1)
	s_add_i32 s10, s14, s9
	s_mov_b32 s17, s11
	s_lshr_b32 s10, s10, 1
	s_lshl_b64 s[18:19], s[10:11], 4
	s_sub_i32 s16, s13, s10
	s_add_u32 s18, s0, s18
	s_addc_u32 s19, s1, s19
	s_lshl_b64 s[20:21], s[16:17], 4
	s_load_b128 s[16:19], s[18:19], 0x0
	s_add_u32 s20, s2, s20
	s_addc_u32 s21, s3, s21
	s_load_b128 s[20:23], s[20:21], 0x0
	s_waitcnt lgkmcnt(0)
	v_cmp_gt_u64_e64 s15, s[20:21], s[16:17]
	s_cmp_eq_u64 s[22:23], s[18:19]
	s_cselect_b32 vcc_lo, -1, 0
	s_add_i32 s16, s10, 1
	s_delay_alu instid0(VALU_DEP_1) | instskip(SKIP_1) | instid1(VALU_DEP_1)
	v_cndmask_b32_e64 v0, 0, 1, s15
	v_cmp_gt_u64_e64 s15, s[22:23], s[18:19]
	v_cndmask_b32_e64 v1, 0, 1, s15
	s_delay_alu instid0(VALU_DEP_1) | instskip(NEXT) | instid1(VALU_DEP_1)
	v_cndmask_b32_e32 v0, v1, v0, vcc_lo
	v_readfirstlane_b32 s15, v0
	s_delay_alu instid0(VALU_DEP_1) | instskip(NEXT) | instid1(SALU_CYCLE_1)
	s_and_b32 s15, 1, s15
	s_cmp_eq_u32 s15, 1
	s_cselect_b32 s14, s10, s14
	s_cselect_b32 s9, s9, s16
	s_delay_alu instid0(SALU_CYCLE_1)
	s_cmp_lt_u32 s9, s14
	s_cbranch_scc1 .LBB63_2
.LBB63_3:
	s_set_inst_prefetch_distance 0x2
	s_delay_alu instid0(VALU_DEP_1)
	s_min_u32 s0, s9, s8
	s_sub_i32 s1, s12, s9
	v_dual_mov_b32 v0, 0 :: v_dual_mov_b32 v1, s0
	v_mov_b32_e32 v2, s1
	s_clause 0x1
	global_store_b32 v0, v1, s[4:5]
	global_store_b32 v0, v2, s[6:7]
	s_nop 0
	s_sendmsg sendmsg(MSG_DEALLOC_VGPRS)
	s_endpgm
	.section	.rodata,"a",@progbits
	.p2align	6, 0x0
	.amdhsa_kernel _Z34thread_search_out_of_bounds_kernelIojN7rocprim17ROCPRIM_304000_NS7greaterIoEEEvPT_S5_PT0_S7_S6_S6_T1_
		.amdhsa_group_segment_fixed_size 0
		.amdhsa_private_segment_fixed_size 0
		.amdhsa_kernarg_size 44
		.amdhsa_user_sgpr_count 15
		.amdhsa_user_sgpr_dispatch_ptr 0
		.amdhsa_user_sgpr_queue_ptr 0
		.amdhsa_user_sgpr_kernarg_segment_ptr 1
		.amdhsa_user_sgpr_dispatch_id 0
		.amdhsa_user_sgpr_private_segment_size 0
		.amdhsa_wavefront_size32 1
		.amdhsa_uses_dynamic_stack 0
		.amdhsa_enable_private_segment 0
		.amdhsa_system_sgpr_workgroup_id_x 1
		.amdhsa_system_sgpr_workgroup_id_y 0
		.amdhsa_system_sgpr_workgroup_id_z 0
		.amdhsa_system_sgpr_workgroup_info 0
		.amdhsa_system_vgpr_workitem_id 0
		.amdhsa_next_free_vgpr 3
		.amdhsa_next_free_sgpr 24
		.amdhsa_reserve_vcc 1
		.amdhsa_float_round_mode_32 0
		.amdhsa_float_round_mode_16_64 0
		.amdhsa_float_denorm_mode_32 3
		.amdhsa_float_denorm_mode_16_64 3
		.amdhsa_dx10_clamp 1
		.amdhsa_ieee_mode 1
		.amdhsa_fp16_overflow 0
		.amdhsa_workgroup_processor_mode 1
		.amdhsa_memory_ordered 1
		.amdhsa_forward_progress 0
		.amdhsa_shared_vgpr_count 0
		.amdhsa_exception_fp_ieee_invalid_op 0
		.amdhsa_exception_fp_denorm_src 0
		.amdhsa_exception_fp_ieee_div_zero 0
		.amdhsa_exception_fp_ieee_overflow 0
		.amdhsa_exception_fp_ieee_underflow 0
		.amdhsa_exception_fp_ieee_inexact 0
		.amdhsa_exception_int_div_zero 0
	.end_amdhsa_kernel
	.section	.text._Z34thread_search_out_of_bounds_kernelIojN7rocprim17ROCPRIM_304000_NS7greaterIoEEEvPT_S5_PT0_S7_S6_S6_T1_,"axG",@progbits,_Z34thread_search_out_of_bounds_kernelIojN7rocprim17ROCPRIM_304000_NS7greaterIoEEEvPT_S5_PT0_S7_S6_S6_T1_,comdat
.Lfunc_end63:
	.size	_Z34thread_search_out_of_bounds_kernelIojN7rocprim17ROCPRIM_304000_NS7greaterIoEEEvPT_S5_PT0_S7_S6_S6_T1_, .Lfunc_end63-_Z34thread_search_out_of_bounds_kernelIojN7rocprim17ROCPRIM_304000_NS7greaterIoEEEvPT_S5_PT0_S7_S6_S6_T1_
                                        ; -- End function
	.section	.AMDGPU.csdata,"",@progbits
; Kernel info:
; codeLenInByte = 288
; NumSgprs: 26
; NumVgprs: 3
; ScratchSize: 0
; MemoryBound: 0
; FloatMode: 240
; IeeeMode: 1
; LDSByteSize: 0 bytes/workgroup (compile time only)
; SGPRBlocks: 3
; VGPRBlocks: 0
; NumSGPRsForWavesPerEU: 26
; NumVGPRsForWavesPerEU: 3
; Occupancy: 16
; WaveLimiterHint : 0
; COMPUTE_PGM_RSRC2:SCRATCH_EN: 0
; COMPUTE_PGM_RSRC2:USER_SGPR: 15
; COMPUTE_PGM_RSRC2:TRAP_HANDLER: 0
; COMPUTE_PGM_RSRC2:TGID_X_EN: 1
; COMPUTE_PGM_RSRC2:TGID_Y_EN: 0
; COMPUTE_PGM_RSRC2:TGID_Z_EN: 0
; COMPUTE_PGM_RSRC2:TIDIG_COMP_CNT: 0
	.section	.text._Z20thread_search_kernelIN6common11custom_typeIddLb1EEEjN7rocprim17ROCPRIM_304000_NS4lessIS2_EETnT0_Lj4EEvPT_S9_PS7_SA_S7_S7_T1_,"axG",@progbits,_Z20thread_search_kernelIN6common11custom_typeIddLb1EEEjN7rocprim17ROCPRIM_304000_NS4lessIS2_EETnT0_Lj4EEvPT_S9_PS7_SA_S7_S7_T1_,comdat
	.protected	_Z20thread_search_kernelIN6common11custom_typeIddLb1EEEjN7rocprim17ROCPRIM_304000_NS4lessIS2_EETnT0_Lj4EEvPT_S9_PS7_SA_S7_S7_T1_ ; -- Begin function _Z20thread_search_kernelIN6common11custom_typeIddLb1EEEjN7rocprim17ROCPRIM_304000_NS4lessIS2_EETnT0_Lj4EEvPT_S9_PS7_SA_S7_S7_T1_
	.globl	_Z20thread_search_kernelIN6common11custom_typeIddLb1EEEjN7rocprim17ROCPRIM_304000_NS4lessIS2_EETnT0_Lj4EEvPT_S9_PS7_SA_S7_S7_T1_
	.p2align	8
	.type	_Z20thread_search_kernelIN6common11custom_typeIddLb1EEEjN7rocprim17ROCPRIM_304000_NS4lessIS2_EETnT0_Lj4EEvPT_S9_PS7_SA_S7_S7_T1_,@function
_Z20thread_search_kernelIN6common11custom_typeIddLb1EEEjN7rocprim17ROCPRIM_304000_NS4lessIS2_EETnT0_Lj4EEvPT_S9_PS7_SA_S7_S7_T1_: ; @_Z20thread_search_kernelIN6common11custom_typeIddLb1EEEjN7rocprim17ROCPRIM_304000_NS4lessIS2_EETnT0_Lj4EEvPT_S9_PS7_SA_S7_S7_T1_
; %bb.0:
	s_clause 0x1
	s_load_b32 s2, s[0:1], 0x3c
	s_load_b64 s[8:9], s[0:1], 0x20
	s_waitcnt lgkmcnt(0)
	s_and_b32 s2, s2, 0xffff
	s_delay_alu instid0(SALU_CYCLE_1) | instskip(SKIP_1) | instid1(VALU_DEP_1)
	v_mad_u64_u32 v[1:2], null, s15, s2, v[0:1]
	s_load_b256 s[0:7], s[0:1], 0x0
	v_lshlrev_b32_e32 v0, 2, v1
	s_delay_alu instid0(VALU_DEP_1) | instskip(SKIP_2) | instid1(VALU_DEP_1)
	v_sub_nc_u32_e64 v12, v0, s9 clamp
	v_min_u32_e32 v13, s8, v0
	s_mov_b32 s9, exec_lo
	v_cmpx_lt_u32_e64 v12, v13
	s_cbranch_execz .LBB64_8
; %bb.1:
	v_mov_b32_e32 v3, 0
	s_mov_b32 s10, 0
                                        ; implicit-def: $sgpr11
	s_set_inst_prefetch_distance 0x1
	s_branch .LBB64_4
	.p2align	6
.LBB64_2:                               ;   in Loop: Header=BB64_4 Depth=1
	s_or_b32 exec_lo, exec_lo, s14
	s_delay_alu instid0(SALU_CYCLE_1) | instskip(SKIP_1) | instid1(SALU_CYCLE_1)
	s_and_not1_b32 s11, s11, exec_lo
	s_and_b32 s13, s13, exec_lo
	s_or_b32 s11, s11, s13
.LBB64_3:                               ;   in Loop: Header=BB64_4 Depth=1
	s_or_b32 exec_lo, exec_lo, s12
	v_add_nc_u32_e32 v4, 1, v2
	v_cndmask_b32_e64 v13, v13, v2, s11
	s_delay_alu instid0(VALU_DEP_2) | instskip(NEXT) | instid1(VALU_DEP_1)
	v_cndmask_b32_e64 v12, v4, v12, s11
	v_cmp_ge_u32_e32 vcc_lo, v12, v13
	s_or_b32 s10, vcc_lo, s10
	s_delay_alu instid0(SALU_CYCLE_1)
	s_and_not1_b32 exec_lo, exec_lo, s10
	s_cbranch_execz .LBB64_7
.LBB64_4:                               ; =>This Inner Loop Header: Depth=1
	s_delay_alu instid0(VALU_DEP_1) | instskip(SKIP_2) | instid1(VALU_DEP_1)
	v_dual_mov_b32 v5, v3 :: v_dual_add_nc_u32 v2, v13, v12
	s_or_b32 s11, s11, exec_lo
	s_mov_b32 s12, exec_lo
	v_lshrrev_b32_e32 v2, 1, v2
	s_delay_alu instid0(VALU_DEP_1) | instskip(SKIP_1) | instid1(VALU_DEP_2)
	v_xad_u32 v4, v2, -1, v0
	v_lshlrev_b64 v[6:7], 4, v[2:3]
	v_lshlrev_b64 v[8:9], 4, v[4:5]
	s_waitcnt lgkmcnt(0)
	s_delay_alu instid0(VALU_DEP_2) | instskip(NEXT) | instid1(VALU_DEP_3)
	v_add_co_u32 v4, vcc_lo, s0, v6
	v_add_co_ci_u32_e32 v5, vcc_lo, s1, v7, vcc_lo
	s_delay_alu instid0(VALU_DEP_3) | instskip(NEXT) | instid1(VALU_DEP_4)
	v_add_co_u32 v6, vcc_lo, s2, v8
	v_add_co_ci_u32_e32 v7, vcc_lo, s3, v9, vcc_lo
	global_load_b64 v[8:9], v[4:5], off
	global_load_b64 v[10:11], v[6:7], off
	s_waitcnt vmcnt(0)
	v_cmpx_nlt_f64_e32 v[10:11], v[8:9]
	s_cbranch_execz .LBB64_3
; %bb.5:                                ;   in Loop: Header=BB64_4 Depth=1
	s_mov_b32 s13, 0
	s_mov_b32 s14, exec_lo
	v_cmpx_eq_f64_e32 v[10:11], v[8:9]
	s_cbranch_execz .LBB64_2
; %bb.6:                                ;   in Loop: Header=BB64_4 Depth=1
	global_load_b64 v[6:7], v[6:7], off offset:8
	global_load_b64 v[4:5], v[4:5], off offset:8
	s_waitcnt vmcnt(0)
	v_cmp_lt_f64_e32 vcc_lo, v[6:7], v[4:5]
	s_and_b32 s13, vcc_lo, exec_lo
	s_branch .LBB64_2
.LBB64_7:
	s_set_inst_prefetch_distance 0x2
	s_or_b32 exec_lo, exec_lo, s10
.LBB64_8:
	s_delay_alu instid0(SALU_CYCLE_1) | instskip(SKIP_3) | instid1(VALU_DEP_3)
	s_or_b32 exec_lo, exec_lo, s9
	v_mov_b32_e32 v2, 0
	v_sub_nc_u32_e32 v6, v0, v12
	v_min_u32_e32 v5, s8, v12
	v_lshlrev_b64 v[1:2], 2, v[1:2]
	s_waitcnt lgkmcnt(0)
	s_delay_alu instid0(VALU_DEP_1) | instskip(NEXT) | instid1(VALU_DEP_2)
	v_add_co_u32 v3, vcc_lo, s4, v1
	v_add_co_ci_u32_e32 v4, vcc_lo, s5, v2, vcc_lo
	v_add_co_u32 v0, vcc_lo, s6, v1
	v_add_co_ci_u32_e32 v1, vcc_lo, s7, v2, vcc_lo
	global_store_b32 v[3:4], v5, off
	global_store_b32 v[0:1], v6, off
	s_nop 0
	s_sendmsg sendmsg(MSG_DEALLOC_VGPRS)
	s_endpgm
	.section	.rodata,"a",@progbits
	.p2align	6, 0x0
	.amdhsa_kernel _Z20thread_search_kernelIN6common11custom_typeIddLb1EEEjN7rocprim17ROCPRIM_304000_NS4lessIS2_EETnT0_Lj4EEvPT_S9_PS7_SA_S7_S7_T1_
		.amdhsa_group_segment_fixed_size 0
		.amdhsa_private_segment_fixed_size 0
		.amdhsa_kernarg_size 304
		.amdhsa_user_sgpr_count 15
		.amdhsa_user_sgpr_dispatch_ptr 0
		.amdhsa_user_sgpr_queue_ptr 0
		.amdhsa_user_sgpr_kernarg_segment_ptr 1
		.amdhsa_user_sgpr_dispatch_id 0
		.amdhsa_user_sgpr_private_segment_size 0
		.amdhsa_wavefront_size32 1
		.amdhsa_uses_dynamic_stack 0
		.amdhsa_enable_private_segment 0
		.amdhsa_system_sgpr_workgroup_id_x 1
		.amdhsa_system_sgpr_workgroup_id_y 0
		.amdhsa_system_sgpr_workgroup_id_z 0
		.amdhsa_system_sgpr_workgroup_info 0
		.amdhsa_system_vgpr_workitem_id 0
		.amdhsa_next_free_vgpr 14
		.amdhsa_next_free_sgpr 16
		.amdhsa_reserve_vcc 1
		.amdhsa_float_round_mode_32 0
		.amdhsa_float_round_mode_16_64 0
		.amdhsa_float_denorm_mode_32 3
		.amdhsa_float_denorm_mode_16_64 3
		.amdhsa_dx10_clamp 1
		.amdhsa_ieee_mode 1
		.amdhsa_fp16_overflow 0
		.amdhsa_workgroup_processor_mode 1
		.amdhsa_memory_ordered 1
		.amdhsa_forward_progress 0
		.amdhsa_shared_vgpr_count 0
		.amdhsa_exception_fp_ieee_invalid_op 0
		.amdhsa_exception_fp_denorm_src 0
		.amdhsa_exception_fp_ieee_div_zero 0
		.amdhsa_exception_fp_ieee_overflow 0
		.amdhsa_exception_fp_ieee_underflow 0
		.amdhsa_exception_fp_ieee_inexact 0
		.amdhsa_exception_int_div_zero 0
	.end_amdhsa_kernel
	.section	.text._Z20thread_search_kernelIN6common11custom_typeIddLb1EEEjN7rocprim17ROCPRIM_304000_NS4lessIS2_EETnT0_Lj4EEvPT_S9_PS7_SA_S7_S7_T1_,"axG",@progbits,_Z20thread_search_kernelIN6common11custom_typeIddLb1EEEjN7rocprim17ROCPRIM_304000_NS4lessIS2_EETnT0_Lj4EEvPT_S9_PS7_SA_S7_S7_T1_,comdat
.Lfunc_end64:
	.size	_Z20thread_search_kernelIN6common11custom_typeIddLb1EEEjN7rocprim17ROCPRIM_304000_NS4lessIS2_EETnT0_Lj4EEvPT_S9_PS7_SA_S7_S7_T1_, .Lfunc_end64-_Z20thread_search_kernelIN6common11custom_typeIddLb1EEEjN7rocprim17ROCPRIM_304000_NS4lessIS2_EETnT0_Lj4EEvPT_S9_PS7_SA_S7_S7_T1_
                                        ; -- End function
	.section	.AMDGPU.csdata,"",@progbits
; Kernel info:
; codeLenInByte = 432
; NumSgprs: 18
; NumVgprs: 14
; ScratchSize: 0
; MemoryBound: 1
; FloatMode: 240
; IeeeMode: 1
; LDSByteSize: 0 bytes/workgroup (compile time only)
; SGPRBlocks: 2
; VGPRBlocks: 1
; NumSGPRsForWavesPerEU: 18
; NumVGPRsForWavesPerEU: 14
; Occupancy: 16
; WaveLimiterHint : 0
; COMPUTE_PGM_RSRC2:SCRATCH_EN: 0
; COMPUTE_PGM_RSRC2:USER_SGPR: 15
; COMPUTE_PGM_RSRC2:TRAP_HANDLER: 0
; COMPUTE_PGM_RSRC2:TGID_X_EN: 1
; COMPUTE_PGM_RSRC2:TGID_Y_EN: 0
; COMPUTE_PGM_RSRC2:TGID_Z_EN: 0
; COMPUTE_PGM_RSRC2:TIDIG_COMP_CNT: 0
	.section	.text._Z34thread_search_out_of_bounds_kernelIN6common11custom_typeIddLb1EEEjN7rocprim17ROCPRIM_304000_NS4lessIS2_EEEvPT_S8_PT0_SA_S9_S9_T1_,"axG",@progbits,_Z34thread_search_out_of_bounds_kernelIN6common11custom_typeIddLb1EEEjN7rocprim17ROCPRIM_304000_NS4lessIS2_EEEvPT_S8_PT0_SA_S9_S9_T1_,comdat
	.protected	_Z34thread_search_out_of_bounds_kernelIN6common11custom_typeIddLb1EEEjN7rocprim17ROCPRIM_304000_NS4lessIS2_EEEvPT_S8_PT0_SA_S9_S9_T1_ ; -- Begin function _Z34thread_search_out_of_bounds_kernelIN6common11custom_typeIddLb1EEEjN7rocprim17ROCPRIM_304000_NS4lessIS2_EEEvPT_S8_PT0_SA_S9_S9_T1_
	.globl	_Z34thread_search_out_of_bounds_kernelIN6common11custom_typeIddLb1EEEjN7rocprim17ROCPRIM_304000_NS4lessIS2_EEEvPT_S8_PT0_SA_S9_S9_T1_
	.p2align	8
	.type	_Z34thread_search_out_of_bounds_kernelIN6common11custom_typeIddLb1EEEjN7rocprim17ROCPRIM_304000_NS4lessIS2_EEEvPT_S8_PT0_SA_S9_S9_T1_,@function
_Z34thread_search_out_of_bounds_kernelIN6common11custom_typeIddLb1EEEjN7rocprim17ROCPRIM_304000_NS4lessIS2_EEEvPT_S8_PT0_SA_S9_S9_T1_: ; @_Z34thread_search_out_of_bounds_kernelIN6common11custom_typeIddLb1EEEjN7rocprim17ROCPRIM_304000_NS4lessIS2_EEEvPT_S8_PT0_SA_S9_S9_T1_
; %bb.0:
	s_clause 0x1
	s_load_b64 s[8:9], s[0:1], 0x20
	s_load_b256 s[0:7], s[0:1], 0x0
	s_waitcnt lgkmcnt(0)
	s_add_i32 s21, s9, s8
	s_delay_alu instid0(SALU_CYCLE_1) | instskip(NEXT) | instid1(SALU_CYCLE_1)
	s_add_i32 s20, s21, 1
	v_sub_nc_u32_e64 v0, s20, s9 clamp
	s_min_u32 s22, s20, s8
	s_delay_alu instid0(VALU_DEP_1) | instid1(SALU_CYCLE_1)
	v_cmp_le_u32_e32 vcc_lo, s22, v0
	v_readfirstlane_b32 s9, v0
	s_cbranch_vccnz .LBB65_7
; %bb.1:
	s_mov_b32 s11, 0
	s_set_inst_prefetch_distance 0x1
	s_branch .LBB65_4
	.p2align	6
.LBB65_2:                               ;   in Loop: Header=BB65_4 Depth=1
	s_load_b64 s[14:15], s[14:15], 0x8
	s_load_b64 s[12:13], s[12:13], 0x8
	s_waitcnt lgkmcnt(0)
	v_cmp_lt_f64_e64 s23, s[14:15], s[12:13]
.LBB65_3:                               ;   in Loop: Header=BB65_4 Depth=1
	s_add_i32 s12, s10, 1
	s_delay_alu instid0(VALU_DEP_1) | instskip(SKIP_2) | instid1(SALU_CYCLE_1)
	s_and_b32 s13, s23, exec_lo
	s_cselect_b32 s22, s10, s22
	s_cselect_b32 s9, s9, s12
	s_cmp_lt_u32 s9, s22
	s_cbranch_scc0 .LBB65_7
.LBB65_4:                               ; =>This Inner Loop Header: Depth=1
	s_add_i32 s10, s22, s9
	s_mov_b32 s15, s11
	s_lshr_b32 s10, s10, 1
	s_delay_alu instid0(SALU_CYCLE_1) | instskip(SKIP_4) | instid1(SALU_CYCLE_1)
	s_lshl_b64 s[12:13], s[10:11], 4
	s_sub_i32 s14, s21, s10
	s_add_u32 s12, s0, s12
	s_addc_u32 s13, s1, s13
	s_lshl_b64 s[14:15], s[14:15], 4
	s_add_u32 s14, s2, s14
	s_addc_u32 s15, s3, s15
	s_load_b64 s[16:17], s[12:13], 0x0
	s_load_b64 s[18:19], s[14:15], 0x0
	s_waitcnt lgkmcnt(0)
	v_cmp_lt_f64_e64 s23, s[18:19], s[16:17]
	s_delay_alu instid0(VALU_DEP_1)
	s_and_b32 vcc_lo, exec_lo, s23
	s_mov_b32 s23, -1
	s_cbranch_vccnz .LBB65_3
; %bb.5:                                ;   in Loop: Header=BB65_4 Depth=1
	v_cmp_neq_f64_e64 s16, s[18:19], s[16:17]
	s_delay_alu instid0(VALU_DEP_1)
	s_and_b32 vcc_lo, exec_lo, s16
	s_cbranch_vccz .LBB65_2
; %bb.6:                                ;   in Loop: Header=BB65_4 Depth=1
	s_mov_b32 s23, 0
	s_branch .LBB65_3
.LBB65_7:
	s_set_inst_prefetch_distance 0x2
	s_delay_alu instid0(VALU_DEP_1)
	s_min_u32 s0, s9, s8
	s_sub_i32 s1, s20, s9
	v_dual_mov_b32 v0, 0 :: v_dual_mov_b32 v1, s0
	v_mov_b32_e32 v2, s1
	s_clause 0x1
	global_store_b32 v0, v1, s[4:5]
	global_store_b32 v0, v2, s[6:7]
	s_nop 0
	s_sendmsg sendmsg(MSG_DEALLOC_VGPRS)
	s_endpgm
	.section	.rodata,"a",@progbits
	.p2align	6, 0x0
	.amdhsa_kernel _Z34thread_search_out_of_bounds_kernelIN6common11custom_typeIddLb1EEEjN7rocprim17ROCPRIM_304000_NS4lessIS2_EEEvPT_S8_PT0_SA_S9_S9_T1_
		.amdhsa_group_segment_fixed_size 0
		.amdhsa_private_segment_fixed_size 0
		.amdhsa_kernarg_size 44
		.amdhsa_user_sgpr_count 15
		.amdhsa_user_sgpr_dispatch_ptr 0
		.amdhsa_user_sgpr_queue_ptr 0
		.amdhsa_user_sgpr_kernarg_segment_ptr 1
		.amdhsa_user_sgpr_dispatch_id 0
		.amdhsa_user_sgpr_private_segment_size 0
		.amdhsa_wavefront_size32 1
		.amdhsa_uses_dynamic_stack 0
		.amdhsa_enable_private_segment 0
		.amdhsa_system_sgpr_workgroup_id_x 1
		.amdhsa_system_sgpr_workgroup_id_y 0
		.amdhsa_system_sgpr_workgroup_id_z 0
		.amdhsa_system_sgpr_workgroup_info 0
		.amdhsa_system_vgpr_workitem_id 0
		.amdhsa_next_free_vgpr 3
		.amdhsa_next_free_sgpr 24
		.amdhsa_reserve_vcc 1
		.amdhsa_float_round_mode_32 0
		.amdhsa_float_round_mode_16_64 0
		.amdhsa_float_denorm_mode_32 3
		.amdhsa_float_denorm_mode_16_64 3
		.amdhsa_dx10_clamp 1
		.amdhsa_ieee_mode 1
		.amdhsa_fp16_overflow 0
		.amdhsa_workgroup_processor_mode 1
		.amdhsa_memory_ordered 1
		.amdhsa_forward_progress 0
		.amdhsa_shared_vgpr_count 0
		.amdhsa_exception_fp_ieee_invalid_op 0
		.amdhsa_exception_fp_denorm_src 0
		.amdhsa_exception_fp_ieee_div_zero 0
		.amdhsa_exception_fp_ieee_overflow 0
		.amdhsa_exception_fp_ieee_underflow 0
		.amdhsa_exception_fp_ieee_inexact 0
		.amdhsa_exception_int_div_zero 0
	.end_amdhsa_kernel
	.section	.text._Z34thread_search_out_of_bounds_kernelIN6common11custom_typeIddLb1EEEjN7rocprim17ROCPRIM_304000_NS4lessIS2_EEEvPT_S8_PT0_SA_S9_S9_T1_,"axG",@progbits,_Z34thread_search_out_of_bounds_kernelIN6common11custom_typeIddLb1EEEjN7rocprim17ROCPRIM_304000_NS4lessIS2_EEEvPT_S8_PT0_SA_S9_S9_T1_,comdat
.Lfunc_end65:
	.size	_Z34thread_search_out_of_bounds_kernelIN6common11custom_typeIddLb1EEEjN7rocprim17ROCPRIM_304000_NS4lessIS2_EEEvPT_S8_PT0_SA_S9_S9_T1_, .Lfunc_end65-_Z34thread_search_out_of_bounds_kernelIN6common11custom_typeIddLb1EEEjN7rocprim17ROCPRIM_304000_NS4lessIS2_EEEvPT_S8_PT0_SA_S9_S9_T1_
                                        ; -- End function
	.section	.AMDGPU.csdata,"",@progbits
; Kernel info:
; codeLenInByte = 308
; NumSgprs: 26
; NumVgprs: 3
; ScratchSize: 0
; MemoryBound: 1
; FloatMode: 240
; IeeeMode: 1
; LDSByteSize: 0 bytes/workgroup (compile time only)
; SGPRBlocks: 3
; VGPRBlocks: 0
; NumSGPRsForWavesPerEU: 26
; NumVGPRsForWavesPerEU: 3
; Occupancy: 16
; WaveLimiterHint : 0
; COMPUTE_PGM_RSRC2:SCRATCH_EN: 0
; COMPUTE_PGM_RSRC2:USER_SGPR: 15
; COMPUTE_PGM_RSRC2:TRAP_HANDLER: 0
; COMPUTE_PGM_RSRC2:TGID_X_EN: 1
; COMPUTE_PGM_RSRC2:TGID_Y_EN: 0
; COMPUTE_PGM_RSRC2:TGID_Z_EN: 0
; COMPUTE_PGM_RSRC2:TIDIG_COMP_CNT: 0
	.section	.text._Z20thread_search_kernelIN6common11custom_typeIddLb1EEEjN7rocprim17ROCPRIM_304000_NS7greaterIS2_EETnT0_Lj4EEvPT_S9_PS7_SA_S7_S7_T1_,"axG",@progbits,_Z20thread_search_kernelIN6common11custom_typeIddLb1EEEjN7rocprim17ROCPRIM_304000_NS7greaterIS2_EETnT0_Lj4EEvPT_S9_PS7_SA_S7_S7_T1_,comdat
	.protected	_Z20thread_search_kernelIN6common11custom_typeIddLb1EEEjN7rocprim17ROCPRIM_304000_NS7greaterIS2_EETnT0_Lj4EEvPT_S9_PS7_SA_S7_S7_T1_ ; -- Begin function _Z20thread_search_kernelIN6common11custom_typeIddLb1EEEjN7rocprim17ROCPRIM_304000_NS7greaterIS2_EETnT0_Lj4EEvPT_S9_PS7_SA_S7_S7_T1_
	.globl	_Z20thread_search_kernelIN6common11custom_typeIddLb1EEEjN7rocprim17ROCPRIM_304000_NS7greaterIS2_EETnT0_Lj4EEvPT_S9_PS7_SA_S7_S7_T1_
	.p2align	8
	.type	_Z20thread_search_kernelIN6common11custom_typeIddLb1EEEjN7rocprim17ROCPRIM_304000_NS7greaterIS2_EETnT0_Lj4EEvPT_S9_PS7_SA_S7_S7_T1_,@function
_Z20thread_search_kernelIN6common11custom_typeIddLb1EEEjN7rocprim17ROCPRIM_304000_NS7greaterIS2_EETnT0_Lj4EEvPT_S9_PS7_SA_S7_S7_T1_: ; @_Z20thread_search_kernelIN6common11custom_typeIddLb1EEEjN7rocprim17ROCPRIM_304000_NS7greaterIS2_EETnT0_Lj4EEvPT_S9_PS7_SA_S7_S7_T1_
; %bb.0:
	s_clause 0x1
	s_load_b32 s2, s[0:1], 0x3c
	s_load_b64 s[8:9], s[0:1], 0x20
	s_waitcnt lgkmcnt(0)
	s_and_b32 s2, s2, 0xffff
	s_delay_alu instid0(SALU_CYCLE_1) | instskip(SKIP_1) | instid1(VALU_DEP_1)
	v_mad_u64_u32 v[1:2], null, s15, s2, v[0:1]
	s_load_b256 s[0:7], s[0:1], 0x0
	v_lshlrev_b32_e32 v0, 2, v1
	s_delay_alu instid0(VALU_DEP_1) | instskip(SKIP_2) | instid1(VALU_DEP_1)
	v_sub_nc_u32_e64 v12, v0, s9 clamp
	v_min_u32_e32 v13, s8, v0
	s_mov_b32 s9, exec_lo
	v_cmpx_lt_u32_e64 v12, v13
	s_cbranch_execz .LBB66_8
; %bb.1:
	v_mov_b32_e32 v3, 0
	s_mov_b32 s10, 0
                                        ; implicit-def: $sgpr11
	s_set_inst_prefetch_distance 0x1
	s_branch .LBB66_4
	.p2align	6
.LBB66_2:                               ;   in Loop: Header=BB66_4 Depth=1
	s_or_b32 exec_lo, exec_lo, s14
	s_delay_alu instid0(SALU_CYCLE_1) | instskip(SKIP_1) | instid1(SALU_CYCLE_1)
	s_and_not1_b32 s11, s11, exec_lo
	s_and_b32 s13, s13, exec_lo
	s_or_b32 s11, s11, s13
.LBB66_3:                               ;   in Loop: Header=BB66_4 Depth=1
	s_or_b32 exec_lo, exec_lo, s12
	v_add_nc_u32_e32 v4, 1, v2
	v_cndmask_b32_e64 v13, v13, v2, s11
	s_delay_alu instid0(VALU_DEP_2) | instskip(NEXT) | instid1(VALU_DEP_1)
	v_cndmask_b32_e64 v12, v4, v12, s11
	v_cmp_ge_u32_e32 vcc_lo, v12, v13
	s_or_b32 s10, vcc_lo, s10
	s_delay_alu instid0(SALU_CYCLE_1)
	s_and_not1_b32 exec_lo, exec_lo, s10
	s_cbranch_execz .LBB66_7
.LBB66_4:                               ; =>This Inner Loop Header: Depth=1
	s_delay_alu instid0(VALU_DEP_1) | instskip(SKIP_2) | instid1(VALU_DEP_1)
	v_dual_mov_b32 v5, v3 :: v_dual_add_nc_u32 v2, v13, v12
	s_or_b32 s11, s11, exec_lo
	s_mov_b32 s12, exec_lo
	v_lshrrev_b32_e32 v2, 1, v2
	s_delay_alu instid0(VALU_DEP_1) | instskip(SKIP_1) | instid1(VALU_DEP_2)
	v_xad_u32 v4, v2, -1, v0
	v_lshlrev_b64 v[6:7], 4, v[2:3]
	v_lshlrev_b64 v[8:9], 4, v[4:5]
	s_waitcnt lgkmcnt(0)
	s_delay_alu instid0(VALU_DEP_2) | instskip(NEXT) | instid1(VALU_DEP_3)
	v_add_co_u32 v4, vcc_lo, s0, v6
	v_add_co_ci_u32_e32 v5, vcc_lo, s1, v7, vcc_lo
	s_delay_alu instid0(VALU_DEP_3) | instskip(NEXT) | instid1(VALU_DEP_4)
	v_add_co_u32 v6, vcc_lo, s2, v8
	v_add_co_ci_u32_e32 v7, vcc_lo, s3, v9, vcc_lo
	global_load_b64 v[8:9], v[4:5], off
	global_load_b64 v[10:11], v[6:7], off
	s_waitcnt vmcnt(0)
	v_cmpx_ngt_f64_e32 v[10:11], v[8:9]
	s_cbranch_execz .LBB66_3
; %bb.5:                                ;   in Loop: Header=BB66_4 Depth=1
	s_mov_b32 s13, 0
	s_mov_b32 s14, exec_lo
	v_cmpx_eq_f64_e32 v[10:11], v[8:9]
	s_cbranch_execz .LBB66_2
; %bb.6:                                ;   in Loop: Header=BB66_4 Depth=1
	global_load_b64 v[6:7], v[6:7], off offset:8
	global_load_b64 v[4:5], v[4:5], off offset:8
	s_waitcnt vmcnt(0)
	v_cmp_gt_f64_e32 vcc_lo, v[6:7], v[4:5]
	s_and_b32 s13, vcc_lo, exec_lo
	s_branch .LBB66_2
.LBB66_7:
	s_set_inst_prefetch_distance 0x2
	s_or_b32 exec_lo, exec_lo, s10
.LBB66_8:
	s_delay_alu instid0(SALU_CYCLE_1) | instskip(SKIP_3) | instid1(VALU_DEP_3)
	s_or_b32 exec_lo, exec_lo, s9
	v_mov_b32_e32 v2, 0
	v_sub_nc_u32_e32 v6, v0, v12
	v_min_u32_e32 v5, s8, v12
	v_lshlrev_b64 v[1:2], 2, v[1:2]
	s_waitcnt lgkmcnt(0)
	s_delay_alu instid0(VALU_DEP_1) | instskip(NEXT) | instid1(VALU_DEP_2)
	v_add_co_u32 v3, vcc_lo, s4, v1
	v_add_co_ci_u32_e32 v4, vcc_lo, s5, v2, vcc_lo
	v_add_co_u32 v0, vcc_lo, s6, v1
	v_add_co_ci_u32_e32 v1, vcc_lo, s7, v2, vcc_lo
	global_store_b32 v[3:4], v5, off
	global_store_b32 v[0:1], v6, off
	s_nop 0
	s_sendmsg sendmsg(MSG_DEALLOC_VGPRS)
	s_endpgm
	.section	.rodata,"a",@progbits
	.p2align	6, 0x0
	.amdhsa_kernel _Z20thread_search_kernelIN6common11custom_typeIddLb1EEEjN7rocprim17ROCPRIM_304000_NS7greaterIS2_EETnT0_Lj4EEvPT_S9_PS7_SA_S7_S7_T1_
		.amdhsa_group_segment_fixed_size 0
		.amdhsa_private_segment_fixed_size 0
		.amdhsa_kernarg_size 304
		.amdhsa_user_sgpr_count 15
		.amdhsa_user_sgpr_dispatch_ptr 0
		.amdhsa_user_sgpr_queue_ptr 0
		.amdhsa_user_sgpr_kernarg_segment_ptr 1
		.amdhsa_user_sgpr_dispatch_id 0
		.amdhsa_user_sgpr_private_segment_size 0
		.amdhsa_wavefront_size32 1
		.amdhsa_uses_dynamic_stack 0
		.amdhsa_enable_private_segment 0
		.amdhsa_system_sgpr_workgroup_id_x 1
		.amdhsa_system_sgpr_workgroup_id_y 0
		.amdhsa_system_sgpr_workgroup_id_z 0
		.amdhsa_system_sgpr_workgroup_info 0
		.amdhsa_system_vgpr_workitem_id 0
		.amdhsa_next_free_vgpr 14
		.amdhsa_next_free_sgpr 16
		.amdhsa_reserve_vcc 1
		.amdhsa_float_round_mode_32 0
		.amdhsa_float_round_mode_16_64 0
		.amdhsa_float_denorm_mode_32 3
		.amdhsa_float_denorm_mode_16_64 3
		.amdhsa_dx10_clamp 1
		.amdhsa_ieee_mode 1
		.amdhsa_fp16_overflow 0
		.amdhsa_workgroup_processor_mode 1
		.amdhsa_memory_ordered 1
		.amdhsa_forward_progress 0
		.amdhsa_shared_vgpr_count 0
		.amdhsa_exception_fp_ieee_invalid_op 0
		.amdhsa_exception_fp_denorm_src 0
		.amdhsa_exception_fp_ieee_div_zero 0
		.amdhsa_exception_fp_ieee_overflow 0
		.amdhsa_exception_fp_ieee_underflow 0
		.amdhsa_exception_fp_ieee_inexact 0
		.amdhsa_exception_int_div_zero 0
	.end_amdhsa_kernel
	.section	.text._Z20thread_search_kernelIN6common11custom_typeIddLb1EEEjN7rocprim17ROCPRIM_304000_NS7greaterIS2_EETnT0_Lj4EEvPT_S9_PS7_SA_S7_S7_T1_,"axG",@progbits,_Z20thread_search_kernelIN6common11custom_typeIddLb1EEEjN7rocprim17ROCPRIM_304000_NS7greaterIS2_EETnT0_Lj4EEvPT_S9_PS7_SA_S7_S7_T1_,comdat
.Lfunc_end66:
	.size	_Z20thread_search_kernelIN6common11custom_typeIddLb1EEEjN7rocprim17ROCPRIM_304000_NS7greaterIS2_EETnT0_Lj4EEvPT_S9_PS7_SA_S7_S7_T1_, .Lfunc_end66-_Z20thread_search_kernelIN6common11custom_typeIddLb1EEEjN7rocprim17ROCPRIM_304000_NS7greaterIS2_EETnT0_Lj4EEvPT_S9_PS7_SA_S7_S7_T1_
                                        ; -- End function
	.section	.AMDGPU.csdata,"",@progbits
; Kernel info:
; codeLenInByte = 432
; NumSgprs: 18
; NumVgprs: 14
; ScratchSize: 0
; MemoryBound: 1
; FloatMode: 240
; IeeeMode: 1
; LDSByteSize: 0 bytes/workgroup (compile time only)
; SGPRBlocks: 2
; VGPRBlocks: 1
; NumSGPRsForWavesPerEU: 18
; NumVGPRsForWavesPerEU: 14
; Occupancy: 16
; WaveLimiterHint : 0
; COMPUTE_PGM_RSRC2:SCRATCH_EN: 0
; COMPUTE_PGM_RSRC2:USER_SGPR: 15
; COMPUTE_PGM_RSRC2:TRAP_HANDLER: 0
; COMPUTE_PGM_RSRC2:TGID_X_EN: 1
; COMPUTE_PGM_RSRC2:TGID_Y_EN: 0
; COMPUTE_PGM_RSRC2:TGID_Z_EN: 0
; COMPUTE_PGM_RSRC2:TIDIG_COMP_CNT: 0
	.section	.text._Z34thread_search_out_of_bounds_kernelIN6common11custom_typeIddLb1EEEjN7rocprim17ROCPRIM_304000_NS7greaterIS2_EEEvPT_S8_PT0_SA_S9_S9_T1_,"axG",@progbits,_Z34thread_search_out_of_bounds_kernelIN6common11custom_typeIddLb1EEEjN7rocprim17ROCPRIM_304000_NS7greaterIS2_EEEvPT_S8_PT0_SA_S9_S9_T1_,comdat
	.protected	_Z34thread_search_out_of_bounds_kernelIN6common11custom_typeIddLb1EEEjN7rocprim17ROCPRIM_304000_NS7greaterIS2_EEEvPT_S8_PT0_SA_S9_S9_T1_ ; -- Begin function _Z34thread_search_out_of_bounds_kernelIN6common11custom_typeIddLb1EEEjN7rocprim17ROCPRIM_304000_NS7greaterIS2_EEEvPT_S8_PT0_SA_S9_S9_T1_
	.globl	_Z34thread_search_out_of_bounds_kernelIN6common11custom_typeIddLb1EEEjN7rocprim17ROCPRIM_304000_NS7greaterIS2_EEEvPT_S8_PT0_SA_S9_S9_T1_
	.p2align	8
	.type	_Z34thread_search_out_of_bounds_kernelIN6common11custom_typeIddLb1EEEjN7rocprim17ROCPRIM_304000_NS7greaterIS2_EEEvPT_S8_PT0_SA_S9_S9_T1_,@function
_Z34thread_search_out_of_bounds_kernelIN6common11custom_typeIddLb1EEEjN7rocprim17ROCPRIM_304000_NS7greaterIS2_EEEvPT_S8_PT0_SA_S9_S9_T1_: ; @_Z34thread_search_out_of_bounds_kernelIN6common11custom_typeIddLb1EEEjN7rocprim17ROCPRIM_304000_NS7greaterIS2_EEEvPT_S8_PT0_SA_S9_S9_T1_
; %bb.0:
	s_clause 0x1
	s_load_b64 s[8:9], s[0:1], 0x20
	s_load_b256 s[0:7], s[0:1], 0x0
	s_waitcnt lgkmcnt(0)
	s_add_i32 s21, s9, s8
	s_delay_alu instid0(SALU_CYCLE_1) | instskip(NEXT) | instid1(SALU_CYCLE_1)
	s_add_i32 s20, s21, 1
	v_sub_nc_u32_e64 v0, s20, s9 clamp
	s_min_u32 s22, s20, s8
	s_delay_alu instid0(VALU_DEP_1) | instid1(SALU_CYCLE_1)
	v_cmp_le_u32_e32 vcc_lo, s22, v0
	v_readfirstlane_b32 s9, v0
	s_cbranch_vccnz .LBB67_7
; %bb.1:
	s_mov_b32 s11, 0
	s_set_inst_prefetch_distance 0x1
	s_branch .LBB67_4
	.p2align	6
.LBB67_2:                               ;   in Loop: Header=BB67_4 Depth=1
	s_load_b64 s[14:15], s[14:15], 0x8
	s_load_b64 s[12:13], s[12:13], 0x8
	s_waitcnt lgkmcnt(0)
	v_cmp_gt_f64_e64 s23, s[14:15], s[12:13]
.LBB67_3:                               ;   in Loop: Header=BB67_4 Depth=1
	s_add_i32 s12, s10, 1
	s_delay_alu instid0(VALU_DEP_1) | instskip(SKIP_2) | instid1(SALU_CYCLE_1)
	s_and_b32 s13, s23, exec_lo
	s_cselect_b32 s22, s10, s22
	s_cselect_b32 s9, s9, s12
	s_cmp_lt_u32 s9, s22
	s_cbranch_scc0 .LBB67_7
.LBB67_4:                               ; =>This Inner Loop Header: Depth=1
	s_add_i32 s10, s22, s9
	s_mov_b32 s15, s11
	s_lshr_b32 s10, s10, 1
	s_delay_alu instid0(SALU_CYCLE_1) | instskip(SKIP_4) | instid1(SALU_CYCLE_1)
	s_lshl_b64 s[12:13], s[10:11], 4
	s_sub_i32 s14, s21, s10
	s_add_u32 s12, s0, s12
	s_addc_u32 s13, s1, s13
	s_lshl_b64 s[14:15], s[14:15], 4
	s_add_u32 s14, s2, s14
	s_addc_u32 s15, s3, s15
	s_load_b64 s[16:17], s[12:13], 0x0
	s_load_b64 s[18:19], s[14:15], 0x0
	s_waitcnt lgkmcnt(0)
	v_cmp_gt_f64_e64 s23, s[18:19], s[16:17]
	s_delay_alu instid0(VALU_DEP_1)
	s_and_b32 vcc_lo, exec_lo, s23
	s_mov_b32 s23, -1
	s_cbranch_vccnz .LBB67_3
; %bb.5:                                ;   in Loop: Header=BB67_4 Depth=1
	v_cmp_neq_f64_e64 s16, s[18:19], s[16:17]
	s_delay_alu instid0(VALU_DEP_1)
	s_and_b32 vcc_lo, exec_lo, s16
	s_cbranch_vccz .LBB67_2
; %bb.6:                                ;   in Loop: Header=BB67_4 Depth=1
	s_mov_b32 s23, 0
	s_branch .LBB67_3
.LBB67_7:
	s_set_inst_prefetch_distance 0x2
	s_delay_alu instid0(VALU_DEP_1)
	s_min_u32 s0, s9, s8
	s_sub_i32 s1, s20, s9
	v_dual_mov_b32 v0, 0 :: v_dual_mov_b32 v1, s0
	v_mov_b32_e32 v2, s1
	s_clause 0x1
	global_store_b32 v0, v1, s[4:5]
	global_store_b32 v0, v2, s[6:7]
	s_nop 0
	s_sendmsg sendmsg(MSG_DEALLOC_VGPRS)
	s_endpgm
	.section	.rodata,"a",@progbits
	.p2align	6, 0x0
	.amdhsa_kernel _Z34thread_search_out_of_bounds_kernelIN6common11custom_typeIddLb1EEEjN7rocprim17ROCPRIM_304000_NS7greaterIS2_EEEvPT_S8_PT0_SA_S9_S9_T1_
		.amdhsa_group_segment_fixed_size 0
		.amdhsa_private_segment_fixed_size 0
		.amdhsa_kernarg_size 44
		.amdhsa_user_sgpr_count 15
		.amdhsa_user_sgpr_dispatch_ptr 0
		.amdhsa_user_sgpr_queue_ptr 0
		.amdhsa_user_sgpr_kernarg_segment_ptr 1
		.amdhsa_user_sgpr_dispatch_id 0
		.amdhsa_user_sgpr_private_segment_size 0
		.amdhsa_wavefront_size32 1
		.amdhsa_uses_dynamic_stack 0
		.amdhsa_enable_private_segment 0
		.amdhsa_system_sgpr_workgroup_id_x 1
		.amdhsa_system_sgpr_workgroup_id_y 0
		.amdhsa_system_sgpr_workgroup_id_z 0
		.amdhsa_system_sgpr_workgroup_info 0
		.amdhsa_system_vgpr_workitem_id 0
		.amdhsa_next_free_vgpr 3
		.amdhsa_next_free_sgpr 24
		.amdhsa_reserve_vcc 1
		.amdhsa_float_round_mode_32 0
		.amdhsa_float_round_mode_16_64 0
		.amdhsa_float_denorm_mode_32 3
		.amdhsa_float_denorm_mode_16_64 3
		.amdhsa_dx10_clamp 1
		.amdhsa_ieee_mode 1
		.amdhsa_fp16_overflow 0
		.amdhsa_workgroup_processor_mode 1
		.amdhsa_memory_ordered 1
		.amdhsa_forward_progress 0
		.amdhsa_shared_vgpr_count 0
		.amdhsa_exception_fp_ieee_invalid_op 0
		.amdhsa_exception_fp_denorm_src 0
		.amdhsa_exception_fp_ieee_div_zero 0
		.amdhsa_exception_fp_ieee_overflow 0
		.amdhsa_exception_fp_ieee_underflow 0
		.amdhsa_exception_fp_ieee_inexact 0
		.amdhsa_exception_int_div_zero 0
	.end_amdhsa_kernel
	.section	.text._Z34thread_search_out_of_bounds_kernelIN6common11custom_typeIddLb1EEEjN7rocprim17ROCPRIM_304000_NS7greaterIS2_EEEvPT_S8_PT0_SA_S9_S9_T1_,"axG",@progbits,_Z34thread_search_out_of_bounds_kernelIN6common11custom_typeIddLb1EEEjN7rocprim17ROCPRIM_304000_NS7greaterIS2_EEEvPT_S8_PT0_SA_S9_S9_T1_,comdat
.Lfunc_end67:
	.size	_Z34thread_search_out_of_bounds_kernelIN6common11custom_typeIddLb1EEEjN7rocprim17ROCPRIM_304000_NS7greaterIS2_EEEvPT_S8_PT0_SA_S9_S9_T1_, .Lfunc_end67-_Z34thread_search_out_of_bounds_kernelIN6common11custom_typeIddLb1EEEjN7rocprim17ROCPRIM_304000_NS7greaterIS2_EEEvPT_S8_PT0_SA_S9_S9_T1_
                                        ; -- End function
	.section	.AMDGPU.csdata,"",@progbits
; Kernel info:
; codeLenInByte = 308
; NumSgprs: 26
; NumVgprs: 3
; ScratchSize: 0
; MemoryBound: 1
; FloatMode: 240
; IeeeMode: 1
; LDSByteSize: 0 bytes/workgroup (compile time only)
; SGPRBlocks: 3
; VGPRBlocks: 0
; NumSGPRsForWavesPerEU: 26
; NumVGPRsForWavesPerEU: 3
; Occupancy: 16
; WaveLimiterHint : 0
; COMPUTE_PGM_RSRC2:SCRATCH_EN: 0
; COMPUTE_PGM_RSRC2:USER_SGPR: 15
; COMPUTE_PGM_RSRC2:TRAP_HANDLER: 0
; COMPUTE_PGM_RSRC2:TGID_X_EN: 1
; COMPUTE_PGM_RSRC2:TGID_Y_EN: 0
; COMPUTE_PGM_RSRC2:TGID_Z_EN: 0
; COMPUTE_PGM_RSRC2:TIDIG_COMP_CNT: 0
	.section	.text._Z20thread_search_kernelIN6common11custom_typeImmLb1EEEjN7rocprim17ROCPRIM_304000_NS4lessIS2_EETnT0_Lj4EEvPT_S9_PS7_SA_S7_S7_T1_,"axG",@progbits,_Z20thread_search_kernelIN6common11custom_typeImmLb1EEEjN7rocprim17ROCPRIM_304000_NS4lessIS2_EETnT0_Lj4EEvPT_S9_PS7_SA_S7_S7_T1_,comdat
	.protected	_Z20thread_search_kernelIN6common11custom_typeImmLb1EEEjN7rocprim17ROCPRIM_304000_NS4lessIS2_EETnT0_Lj4EEvPT_S9_PS7_SA_S7_S7_T1_ ; -- Begin function _Z20thread_search_kernelIN6common11custom_typeImmLb1EEEjN7rocprim17ROCPRIM_304000_NS4lessIS2_EETnT0_Lj4EEvPT_S9_PS7_SA_S7_S7_T1_
	.globl	_Z20thread_search_kernelIN6common11custom_typeImmLb1EEEjN7rocprim17ROCPRIM_304000_NS4lessIS2_EETnT0_Lj4EEvPT_S9_PS7_SA_S7_S7_T1_
	.p2align	8
	.type	_Z20thread_search_kernelIN6common11custom_typeImmLb1EEEjN7rocprim17ROCPRIM_304000_NS4lessIS2_EETnT0_Lj4EEvPT_S9_PS7_SA_S7_S7_T1_,@function
_Z20thread_search_kernelIN6common11custom_typeImmLb1EEEjN7rocprim17ROCPRIM_304000_NS4lessIS2_EETnT0_Lj4EEvPT_S9_PS7_SA_S7_S7_T1_: ; @_Z20thread_search_kernelIN6common11custom_typeImmLb1EEEjN7rocprim17ROCPRIM_304000_NS4lessIS2_EETnT0_Lj4EEvPT_S9_PS7_SA_S7_S7_T1_
; %bb.0:
	s_clause 0x1
	s_load_b32 s4, s[0:1], 0x3c
	s_load_b64 s[2:3], s[0:1], 0x20
	s_waitcnt lgkmcnt(0)
	s_and_b32 s4, s4, 0xffff
	s_delay_alu instid0(SALU_CYCLE_1) | instskip(SKIP_1) | instid1(VALU_DEP_1)
	v_mad_u64_u32 v[1:2], null, s15, s4, v[0:1]
	s_load_b256 s[4:11], s[0:1], 0x0
	v_lshlrev_b32_e32 v0, 2, v1
	s_delay_alu instid0(VALU_DEP_1) | instskip(SKIP_2) | instid1(VALU_DEP_1)
	v_sub_nc_u32_e64 v4, v0, s3 clamp
	v_min_u32_e32 v5, s2, v0
	s_mov_b32 s3, exec_lo
	v_cmpx_lt_u32_e64 v4, v5
	s_cbranch_execz .LBB68_4
; %bb.1:
	v_mov_b32_e32 v3, 0
	s_mov_b32 s12, 0
	s_set_inst_prefetch_distance 0x1
	.p2align	6
.LBB68_2:                               ; =>This Inner Loop Header: Depth=1
	s_delay_alu instid0(VALU_DEP_1) | instskip(NEXT) | instid1(VALU_DEP_1)
	v_dual_mov_b32 v7, v3 :: v_dual_add_nc_u32 v2, v5, v4
	v_lshrrev_b32_e32 v2, 1, v2
	s_delay_alu instid0(VALU_DEP_1) | instskip(SKIP_1) | instid1(VALU_DEP_2)
	v_xad_u32 v6, v2, -1, v0
	v_lshlrev_b64 v[8:9], 4, v[2:3]
	v_lshlrev_b64 v[6:7], 4, v[6:7]
	s_waitcnt lgkmcnt(0)
	s_delay_alu instid0(VALU_DEP_2) | instskip(NEXT) | instid1(VALU_DEP_3)
	v_add_co_u32 v8, vcc_lo, s4, v8
	v_add_co_ci_u32_e32 v9, vcc_lo, s5, v9, vcc_lo
	s_delay_alu instid0(VALU_DEP_3) | instskip(NEXT) | instid1(VALU_DEP_4)
	v_add_co_u32 v10, vcc_lo, s6, v6
	v_add_co_ci_u32_e32 v11, vcc_lo, s7, v7, vcc_lo
	global_load_b128 v[6:9], v[8:9], off
	global_load_b128 v[10:13], v[10:11], off
	s_waitcnt vmcnt(0)
	v_cmp_eq_u64_e32 vcc_lo, v[10:11], v[6:7]
	v_cmp_lt_u64_e64 s0, v[12:13], v[8:9]
	v_cmp_lt_u64_e64 s1, v[10:11], v[6:7]
	v_add_nc_u32_e32 v6, 1, v2
	s_delay_alu instid0(VALU_DEP_3)
	s_and_b32 s0, vcc_lo, s0
	s_delay_alu instid0(VALU_DEP_2) | instid1(SALU_CYCLE_1)
	s_or_b32 vcc_lo, s1, s0
	s_delay_alu instid0(VALU_DEP_1) | instskip(NEXT) | instid1(VALU_DEP_1)
	v_dual_cndmask_b32 v5, v5, v2 :: v_dual_cndmask_b32 v4, v6, v4
	v_cmp_ge_u32_e32 vcc_lo, v4, v5
	s_or_b32 s12, vcc_lo, s12
	s_delay_alu instid0(SALU_CYCLE_1)
	s_and_not1_b32 exec_lo, exec_lo, s12
	s_cbranch_execnz .LBB68_2
; %bb.3:
	s_set_inst_prefetch_distance 0x2
	s_or_b32 exec_lo, exec_lo, s12
.LBB68_4:
	s_delay_alu instid0(SALU_CYCLE_1) | instskip(SKIP_3) | instid1(VALU_DEP_3)
	s_or_b32 exec_lo, exec_lo, s3
	v_mov_b32_e32 v2, 0
	v_min_u32_e32 v5, s2, v4
	v_sub_nc_u32_e32 v6, v0, v4
	v_lshlrev_b64 v[1:2], 2, v[1:2]
	s_waitcnt lgkmcnt(0)
	s_delay_alu instid0(VALU_DEP_1) | instskip(NEXT) | instid1(VALU_DEP_2)
	v_add_co_u32 v3, vcc_lo, s8, v1
	v_add_co_ci_u32_e32 v4, vcc_lo, s9, v2, vcc_lo
	v_add_co_u32 v0, vcc_lo, s10, v1
	v_add_co_ci_u32_e32 v1, vcc_lo, s11, v2, vcc_lo
	global_store_b32 v[3:4], v5, off
	global_store_b32 v[0:1], v6, off
	s_nop 0
	s_sendmsg sendmsg(MSG_DEALLOC_VGPRS)
	s_endpgm
	.section	.rodata,"a",@progbits
	.p2align	6, 0x0
	.amdhsa_kernel _Z20thread_search_kernelIN6common11custom_typeImmLb1EEEjN7rocprim17ROCPRIM_304000_NS4lessIS2_EETnT0_Lj4EEvPT_S9_PS7_SA_S7_S7_T1_
		.amdhsa_group_segment_fixed_size 0
		.amdhsa_private_segment_fixed_size 0
		.amdhsa_kernarg_size 304
		.amdhsa_user_sgpr_count 15
		.amdhsa_user_sgpr_dispatch_ptr 0
		.amdhsa_user_sgpr_queue_ptr 0
		.amdhsa_user_sgpr_kernarg_segment_ptr 1
		.amdhsa_user_sgpr_dispatch_id 0
		.amdhsa_user_sgpr_private_segment_size 0
		.amdhsa_wavefront_size32 1
		.amdhsa_uses_dynamic_stack 0
		.amdhsa_enable_private_segment 0
		.amdhsa_system_sgpr_workgroup_id_x 1
		.amdhsa_system_sgpr_workgroup_id_y 0
		.amdhsa_system_sgpr_workgroup_id_z 0
		.amdhsa_system_sgpr_workgroup_info 0
		.amdhsa_system_vgpr_workitem_id 0
		.amdhsa_next_free_vgpr 14
		.amdhsa_next_free_sgpr 16
		.amdhsa_reserve_vcc 1
		.amdhsa_float_round_mode_32 0
		.amdhsa_float_round_mode_16_64 0
		.amdhsa_float_denorm_mode_32 3
		.amdhsa_float_denorm_mode_16_64 3
		.amdhsa_dx10_clamp 1
		.amdhsa_ieee_mode 1
		.amdhsa_fp16_overflow 0
		.amdhsa_workgroup_processor_mode 1
		.amdhsa_memory_ordered 1
		.amdhsa_forward_progress 0
		.amdhsa_shared_vgpr_count 0
		.amdhsa_exception_fp_ieee_invalid_op 0
		.amdhsa_exception_fp_denorm_src 0
		.amdhsa_exception_fp_ieee_div_zero 0
		.amdhsa_exception_fp_ieee_overflow 0
		.amdhsa_exception_fp_ieee_underflow 0
		.amdhsa_exception_fp_ieee_inexact 0
		.amdhsa_exception_int_div_zero 0
	.end_amdhsa_kernel
	.section	.text._Z20thread_search_kernelIN6common11custom_typeImmLb1EEEjN7rocprim17ROCPRIM_304000_NS4lessIS2_EETnT0_Lj4EEvPT_S9_PS7_SA_S7_S7_T1_,"axG",@progbits,_Z20thread_search_kernelIN6common11custom_typeImmLb1EEEjN7rocprim17ROCPRIM_304000_NS4lessIS2_EETnT0_Lj4EEvPT_S9_PS7_SA_S7_S7_T1_,comdat
.Lfunc_end68:
	.size	_Z20thread_search_kernelIN6common11custom_typeImmLb1EEEjN7rocprim17ROCPRIM_304000_NS4lessIS2_EETnT0_Lj4EEvPT_S9_PS7_SA_S7_S7_T1_, .Lfunc_end68-_Z20thread_search_kernelIN6common11custom_typeImmLb1EEEjN7rocprim17ROCPRIM_304000_NS4lessIS2_EETnT0_Lj4EEvPT_S9_PS7_SA_S7_S7_T1_
                                        ; -- End function
	.section	.AMDGPU.csdata,"",@progbits
; Kernel info:
; codeLenInByte = 368
; NumSgprs: 18
; NumVgprs: 14
; ScratchSize: 0
; MemoryBound: 0
; FloatMode: 240
; IeeeMode: 1
; LDSByteSize: 0 bytes/workgroup (compile time only)
; SGPRBlocks: 2
; VGPRBlocks: 1
; NumSGPRsForWavesPerEU: 18
; NumVGPRsForWavesPerEU: 14
; Occupancy: 16
; WaveLimiterHint : 0
; COMPUTE_PGM_RSRC2:SCRATCH_EN: 0
; COMPUTE_PGM_RSRC2:USER_SGPR: 15
; COMPUTE_PGM_RSRC2:TRAP_HANDLER: 0
; COMPUTE_PGM_RSRC2:TGID_X_EN: 1
; COMPUTE_PGM_RSRC2:TGID_Y_EN: 0
; COMPUTE_PGM_RSRC2:TGID_Z_EN: 0
; COMPUTE_PGM_RSRC2:TIDIG_COMP_CNT: 0
	.section	.text._Z34thread_search_out_of_bounds_kernelIN6common11custom_typeImmLb1EEEjN7rocprim17ROCPRIM_304000_NS4lessIS2_EEEvPT_S8_PT0_SA_S9_S9_T1_,"axG",@progbits,_Z34thread_search_out_of_bounds_kernelIN6common11custom_typeImmLb1EEEjN7rocprim17ROCPRIM_304000_NS4lessIS2_EEEvPT_S8_PT0_SA_S9_S9_T1_,comdat
	.protected	_Z34thread_search_out_of_bounds_kernelIN6common11custom_typeImmLb1EEEjN7rocprim17ROCPRIM_304000_NS4lessIS2_EEEvPT_S8_PT0_SA_S9_S9_T1_ ; -- Begin function _Z34thread_search_out_of_bounds_kernelIN6common11custom_typeImmLb1EEEjN7rocprim17ROCPRIM_304000_NS4lessIS2_EEEvPT_S8_PT0_SA_S9_S9_T1_
	.globl	_Z34thread_search_out_of_bounds_kernelIN6common11custom_typeImmLb1EEEjN7rocprim17ROCPRIM_304000_NS4lessIS2_EEEvPT_S8_PT0_SA_S9_S9_T1_
	.p2align	8
	.type	_Z34thread_search_out_of_bounds_kernelIN6common11custom_typeImmLb1EEEjN7rocprim17ROCPRIM_304000_NS4lessIS2_EEEvPT_S8_PT0_SA_S9_S9_T1_,@function
_Z34thread_search_out_of_bounds_kernelIN6common11custom_typeImmLb1EEEjN7rocprim17ROCPRIM_304000_NS4lessIS2_EEEvPT_S8_PT0_SA_S9_S9_T1_: ; @_Z34thread_search_out_of_bounds_kernelIN6common11custom_typeImmLb1EEEjN7rocprim17ROCPRIM_304000_NS4lessIS2_EEEvPT_S8_PT0_SA_S9_S9_T1_
; %bb.0:
	s_clause 0x1
	s_load_b64 s[8:9], s[0:1], 0x20
	s_load_b256 s[0:7], s[0:1], 0x0
	s_waitcnt lgkmcnt(0)
	s_add_i32 s13, s9, s8
	s_delay_alu instid0(SALU_CYCLE_1) | instskip(NEXT) | instid1(SALU_CYCLE_1)
	s_add_i32 s12, s13, 1
	v_sub_nc_u32_e64 v0, s12, s9 clamp
	s_min_u32 s14, s12, s8
	s_delay_alu instid0(VALU_DEP_1) | instid1(SALU_CYCLE_1)
	v_cmp_le_u32_e32 vcc_lo, s14, v0
	v_readfirstlane_b32 s9, v0
	s_cbranch_vccnz .LBB69_3
; %bb.1:
	s_mov_b32 s11, 0
	.p2align	6
.LBB69_2:                               ; =>This Inner Loop Header: Depth=1
	s_delay_alu instid0(VALU_DEP_1) | instskip(SKIP_2) | instid1(SALU_CYCLE_1)
	s_add_i32 s10, s14, s9
	s_mov_b32 s17, s11
	s_lshr_b32 s10, s10, 1
	s_lshl_b64 s[18:19], s[10:11], 4
	s_sub_i32 s16, s13, s10
	s_add_u32 s18, s0, s18
	s_addc_u32 s19, s1, s19
	s_lshl_b64 s[20:21], s[16:17], 4
	s_load_b128 s[16:19], s[18:19], 0x0
	s_add_u32 s20, s2, s20
	s_addc_u32 s21, s3, s21
	s_load_b128 s[20:23], s[20:21], 0x0
	s_waitcnt lgkmcnt(0)
	v_cmp_lt_u64_e64 s15, s[22:23], s[18:19]
	v_cmp_lt_u64_e64 s18, s[20:21], s[16:17]
	s_cmp_eq_u64 s[20:21], s[16:17]
	s_cselect_b32 s16, -1, 0
	s_add_i32 s17, s10, 1
	s_delay_alu instid0(VALU_DEP_2)
	s_and_b32 s15, s16, s15
	s_delay_alu instid0(VALU_DEP_1) | instid1(SALU_CYCLE_1)
	s_or_b32 s15, s18, s15
	s_delay_alu instid0(SALU_CYCLE_1) | instskip(SKIP_2) | instid1(SALU_CYCLE_1)
	s_and_b32 s15, s15, exec_lo
	s_cselect_b32 s14, s10, s14
	s_cselect_b32 s9, s9, s17
	s_cmp_lt_u32 s9, s14
	s_cbranch_scc1 .LBB69_2
.LBB69_3:
	s_delay_alu instid0(VALU_DEP_1)
	s_min_u32 s0, s9, s8
	s_sub_i32 s1, s12, s9
	v_dual_mov_b32 v0, 0 :: v_dual_mov_b32 v1, s0
	v_mov_b32_e32 v2, s1
	s_clause 0x1
	global_store_b32 v0, v1, s[4:5]
	global_store_b32 v0, v2, s[6:7]
	s_nop 0
	s_sendmsg sendmsg(MSG_DEALLOC_VGPRS)
	s_endpgm
	.section	.rodata,"a",@progbits
	.p2align	6, 0x0
	.amdhsa_kernel _Z34thread_search_out_of_bounds_kernelIN6common11custom_typeImmLb1EEEjN7rocprim17ROCPRIM_304000_NS4lessIS2_EEEvPT_S8_PT0_SA_S9_S9_T1_
		.amdhsa_group_segment_fixed_size 0
		.amdhsa_private_segment_fixed_size 0
		.amdhsa_kernarg_size 44
		.amdhsa_user_sgpr_count 15
		.amdhsa_user_sgpr_dispatch_ptr 0
		.amdhsa_user_sgpr_queue_ptr 0
		.amdhsa_user_sgpr_kernarg_segment_ptr 1
		.amdhsa_user_sgpr_dispatch_id 0
		.amdhsa_user_sgpr_private_segment_size 0
		.amdhsa_wavefront_size32 1
		.amdhsa_uses_dynamic_stack 0
		.amdhsa_enable_private_segment 0
		.amdhsa_system_sgpr_workgroup_id_x 1
		.amdhsa_system_sgpr_workgroup_id_y 0
		.amdhsa_system_sgpr_workgroup_id_z 0
		.amdhsa_system_sgpr_workgroup_info 0
		.amdhsa_system_vgpr_workitem_id 0
		.amdhsa_next_free_vgpr 3
		.amdhsa_next_free_sgpr 24
		.amdhsa_reserve_vcc 1
		.amdhsa_float_round_mode_32 0
		.amdhsa_float_round_mode_16_64 0
		.amdhsa_float_denorm_mode_32 3
		.amdhsa_float_denorm_mode_16_64 3
		.amdhsa_dx10_clamp 1
		.amdhsa_ieee_mode 1
		.amdhsa_fp16_overflow 0
		.amdhsa_workgroup_processor_mode 1
		.amdhsa_memory_ordered 1
		.amdhsa_forward_progress 0
		.amdhsa_shared_vgpr_count 0
		.amdhsa_exception_fp_ieee_invalid_op 0
		.amdhsa_exception_fp_denorm_src 0
		.amdhsa_exception_fp_ieee_div_zero 0
		.amdhsa_exception_fp_ieee_overflow 0
		.amdhsa_exception_fp_ieee_underflow 0
		.amdhsa_exception_fp_ieee_inexact 0
		.amdhsa_exception_int_div_zero 0
	.end_amdhsa_kernel
	.section	.text._Z34thread_search_out_of_bounds_kernelIN6common11custom_typeImmLb1EEEjN7rocprim17ROCPRIM_304000_NS4lessIS2_EEEvPT_S8_PT0_SA_S9_S9_T1_,"axG",@progbits,_Z34thread_search_out_of_bounds_kernelIN6common11custom_typeImmLb1EEEjN7rocprim17ROCPRIM_304000_NS4lessIS2_EEEvPT_S8_PT0_SA_S9_S9_T1_,comdat
.Lfunc_end69:
	.size	_Z34thread_search_out_of_bounds_kernelIN6common11custom_typeImmLb1EEEjN7rocprim17ROCPRIM_304000_NS4lessIS2_EEEvPT_S8_PT0_SA_S9_S9_T1_, .Lfunc_end69-_Z34thread_search_out_of_bounds_kernelIN6common11custom_typeImmLb1EEEjN7rocprim17ROCPRIM_304000_NS4lessIS2_EEEvPT_S8_PT0_SA_S9_S9_T1_
                                        ; -- End function
	.section	.AMDGPU.csdata,"",@progbits
; Kernel info:
; codeLenInByte = 256
; NumSgprs: 26
; NumVgprs: 3
; ScratchSize: 0
; MemoryBound: 0
; FloatMode: 240
; IeeeMode: 1
; LDSByteSize: 0 bytes/workgroup (compile time only)
; SGPRBlocks: 3
; VGPRBlocks: 0
; NumSGPRsForWavesPerEU: 26
; NumVGPRsForWavesPerEU: 3
; Occupancy: 16
; WaveLimiterHint : 0
; COMPUTE_PGM_RSRC2:SCRATCH_EN: 0
; COMPUTE_PGM_RSRC2:USER_SGPR: 15
; COMPUTE_PGM_RSRC2:TRAP_HANDLER: 0
; COMPUTE_PGM_RSRC2:TGID_X_EN: 1
; COMPUTE_PGM_RSRC2:TGID_Y_EN: 0
; COMPUTE_PGM_RSRC2:TGID_Z_EN: 0
; COMPUTE_PGM_RSRC2:TIDIG_COMP_CNT: 0
	.section	.text._Z20thread_search_kernelIN6common11custom_typeImmLb1EEEjN7rocprim17ROCPRIM_304000_NS7greaterIS2_EETnT0_Lj4EEvPT_S9_PS7_SA_S7_S7_T1_,"axG",@progbits,_Z20thread_search_kernelIN6common11custom_typeImmLb1EEEjN7rocprim17ROCPRIM_304000_NS7greaterIS2_EETnT0_Lj4EEvPT_S9_PS7_SA_S7_S7_T1_,comdat
	.protected	_Z20thread_search_kernelIN6common11custom_typeImmLb1EEEjN7rocprim17ROCPRIM_304000_NS7greaterIS2_EETnT0_Lj4EEvPT_S9_PS7_SA_S7_S7_T1_ ; -- Begin function _Z20thread_search_kernelIN6common11custom_typeImmLb1EEEjN7rocprim17ROCPRIM_304000_NS7greaterIS2_EETnT0_Lj4EEvPT_S9_PS7_SA_S7_S7_T1_
	.globl	_Z20thread_search_kernelIN6common11custom_typeImmLb1EEEjN7rocprim17ROCPRIM_304000_NS7greaterIS2_EETnT0_Lj4EEvPT_S9_PS7_SA_S7_S7_T1_
	.p2align	8
	.type	_Z20thread_search_kernelIN6common11custom_typeImmLb1EEEjN7rocprim17ROCPRIM_304000_NS7greaterIS2_EETnT0_Lj4EEvPT_S9_PS7_SA_S7_S7_T1_,@function
_Z20thread_search_kernelIN6common11custom_typeImmLb1EEEjN7rocprim17ROCPRIM_304000_NS7greaterIS2_EETnT0_Lj4EEvPT_S9_PS7_SA_S7_S7_T1_: ; @_Z20thread_search_kernelIN6common11custom_typeImmLb1EEEjN7rocprim17ROCPRIM_304000_NS7greaterIS2_EETnT0_Lj4EEvPT_S9_PS7_SA_S7_S7_T1_
; %bb.0:
	s_clause 0x1
	s_load_b32 s4, s[0:1], 0x3c
	s_load_b64 s[2:3], s[0:1], 0x20
	s_waitcnt lgkmcnt(0)
	s_and_b32 s4, s4, 0xffff
	s_delay_alu instid0(SALU_CYCLE_1) | instskip(SKIP_1) | instid1(VALU_DEP_1)
	v_mad_u64_u32 v[1:2], null, s15, s4, v[0:1]
	s_load_b256 s[4:11], s[0:1], 0x0
	v_lshlrev_b32_e32 v0, 2, v1
	s_delay_alu instid0(VALU_DEP_1) | instskip(SKIP_2) | instid1(VALU_DEP_1)
	v_sub_nc_u32_e64 v4, v0, s3 clamp
	v_min_u32_e32 v5, s2, v0
	s_mov_b32 s3, exec_lo
	v_cmpx_lt_u32_e64 v4, v5
	s_cbranch_execz .LBB70_4
; %bb.1:
	v_mov_b32_e32 v3, 0
	s_mov_b32 s12, 0
	s_set_inst_prefetch_distance 0x1
	.p2align	6
.LBB70_2:                               ; =>This Inner Loop Header: Depth=1
	s_delay_alu instid0(VALU_DEP_1) | instskip(NEXT) | instid1(VALU_DEP_1)
	v_dual_mov_b32 v7, v3 :: v_dual_add_nc_u32 v2, v5, v4
	v_lshrrev_b32_e32 v2, 1, v2
	s_delay_alu instid0(VALU_DEP_1) | instskip(SKIP_1) | instid1(VALU_DEP_2)
	v_xad_u32 v6, v2, -1, v0
	v_lshlrev_b64 v[8:9], 4, v[2:3]
	v_lshlrev_b64 v[6:7], 4, v[6:7]
	s_waitcnt lgkmcnt(0)
	s_delay_alu instid0(VALU_DEP_2) | instskip(NEXT) | instid1(VALU_DEP_3)
	v_add_co_u32 v8, vcc_lo, s4, v8
	v_add_co_ci_u32_e32 v9, vcc_lo, s5, v9, vcc_lo
	s_delay_alu instid0(VALU_DEP_3) | instskip(NEXT) | instid1(VALU_DEP_4)
	v_add_co_u32 v10, vcc_lo, s6, v6
	v_add_co_ci_u32_e32 v11, vcc_lo, s7, v7, vcc_lo
	global_load_b128 v[6:9], v[8:9], off
	global_load_b128 v[10:13], v[10:11], off
	s_waitcnt vmcnt(0)
	v_cmp_eq_u64_e32 vcc_lo, v[10:11], v[6:7]
	v_cmp_gt_u64_e64 s0, v[12:13], v[8:9]
	v_cmp_gt_u64_e64 s1, v[10:11], v[6:7]
	v_add_nc_u32_e32 v6, 1, v2
	s_delay_alu instid0(VALU_DEP_3)
	s_and_b32 s0, vcc_lo, s0
	s_delay_alu instid0(VALU_DEP_2) | instid1(SALU_CYCLE_1)
	s_or_b32 vcc_lo, s1, s0
	s_delay_alu instid0(VALU_DEP_1) | instskip(NEXT) | instid1(VALU_DEP_1)
	v_dual_cndmask_b32 v5, v5, v2 :: v_dual_cndmask_b32 v4, v6, v4
	v_cmp_ge_u32_e32 vcc_lo, v4, v5
	s_or_b32 s12, vcc_lo, s12
	s_delay_alu instid0(SALU_CYCLE_1)
	s_and_not1_b32 exec_lo, exec_lo, s12
	s_cbranch_execnz .LBB70_2
; %bb.3:
	s_set_inst_prefetch_distance 0x2
	s_or_b32 exec_lo, exec_lo, s12
.LBB70_4:
	s_delay_alu instid0(SALU_CYCLE_1) | instskip(SKIP_3) | instid1(VALU_DEP_3)
	s_or_b32 exec_lo, exec_lo, s3
	v_mov_b32_e32 v2, 0
	v_min_u32_e32 v5, s2, v4
	v_sub_nc_u32_e32 v6, v0, v4
	v_lshlrev_b64 v[1:2], 2, v[1:2]
	s_waitcnt lgkmcnt(0)
	s_delay_alu instid0(VALU_DEP_1) | instskip(NEXT) | instid1(VALU_DEP_2)
	v_add_co_u32 v3, vcc_lo, s8, v1
	v_add_co_ci_u32_e32 v4, vcc_lo, s9, v2, vcc_lo
	v_add_co_u32 v0, vcc_lo, s10, v1
	v_add_co_ci_u32_e32 v1, vcc_lo, s11, v2, vcc_lo
	global_store_b32 v[3:4], v5, off
	global_store_b32 v[0:1], v6, off
	s_nop 0
	s_sendmsg sendmsg(MSG_DEALLOC_VGPRS)
	s_endpgm
	.section	.rodata,"a",@progbits
	.p2align	6, 0x0
	.amdhsa_kernel _Z20thread_search_kernelIN6common11custom_typeImmLb1EEEjN7rocprim17ROCPRIM_304000_NS7greaterIS2_EETnT0_Lj4EEvPT_S9_PS7_SA_S7_S7_T1_
		.amdhsa_group_segment_fixed_size 0
		.amdhsa_private_segment_fixed_size 0
		.amdhsa_kernarg_size 304
		.amdhsa_user_sgpr_count 15
		.amdhsa_user_sgpr_dispatch_ptr 0
		.amdhsa_user_sgpr_queue_ptr 0
		.amdhsa_user_sgpr_kernarg_segment_ptr 1
		.amdhsa_user_sgpr_dispatch_id 0
		.amdhsa_user_sgpr_private_segment_size 0
		.amdhsa_wavefront_size32 1
		.amdhsa_uses_dynamic_stack 0
		.amdhsa_enable_private_segment 0
		.amdhsa_system_sgpr_workgroup_id_x 1
		.amdhsa_system_sgpr_workgroup_id_y 0
		.amdhsa_system_sgpr_workgroup_id_z 0
		.amdhsa_system_sgpr_workgroup_info 0
		.amdhsa_system_vgpr_workitem_id 0
		.amdhsa_next_free_vgpr 14
		.amdhsa_next_free_sgpr 16
		.amdhsa_reserve_vcc 1
		.amdhsa_float_round_mode_32 0
		.amdhsa_float_round_mode_16_64 0
		.amdhsa_float_denorm_mode_32 3
		.amdhsa_float_denorm_mode_16_64 3
		.amdhsa_dx10_clamp 1
		.amdhsa_ieee_mode 1
		.amdhsa_fp16_overflow 0
		.amdhsa_workgroup_processor_mode 1
		.amdhsa_memory_ordered 1
		.amdhsa_forward_progress 0
		.amdhsa_shared_vgpr_count 0
		.amdhsa_exception_fp_ieee_invalid_op 0
		.amdhsa_exception_fp_denorm_src 0
		.amdhsa_exception_fp_ieee_div_zero 0
		.amdhsa_exception_fp_ieee_overflow 0
		.amdhsa_exception_fp_ieee_underflow 0
		.amdhsa_exception_fp_ieee_inexact 0
		.amdhsa_exception_int_div_zero 0
	.end_amdhsa_kernel
	.section	.text._Z20thread_search_kernelIN6common11custom_typeImmLb1EEEjN7rocprim17ROCPRIM_304000_NS7greaterIS2_EETnT0_Lj4EEvPT_S9_PS7_SA_S7_S7_T1_,"axG",@progbits,_Z20thread_search_kernelIN6common11custom_typeImmLb1EEEjN7rocprim17ROCPRIM_304000_NS7greaterIS2_EETnT0_Lj4EEvPT_S9_PS7_SA_S7_S7_T1_,comdat
.Lfunc_end70:
	.size	_Z20thread_search_kernelIN6common11custom_typeImmLb1EEEjN7rocprim17ROCPRIM_304000_NS7greaterIS2_EETnT0_Lj4EEvPT_S9_PS7_SA_S7_S7_T1_, .Lfunc_end70-_Z20thread_search_kernelIN6common11custom_typeImmLb1EEEjN7rocprim17ROCPRIM_304000_NS7greaterIS2_EETnT0_Lj4EEvPT_S9_PS7_SA_S7_S7_T1_
                                        ; -- End function
	.section	.AMDGPU.csdata,"",@progbits
; Kernel info:
; codeLenInByte = 368
; NumSgprs: 18
; NumVgprs: 14
; ScratchSize: 0
; MemoryBound: 0
; FloatMode: 240
; IeeeMode: 1
; LDSByteSize: 0 bytes/workgroup (compile time only)
; SGPRBlocks: 2
; VGPRBlocks: 1
; NumSGPRsForWavesPerEU: 18
; NumVGPRsForWavesPerEU: 14
; Occupancy: 16
; WaveLimiterHint : 0
; COMPUTE_PGM_RSRC2:SCRATCH_EN: 0
; COMPUTE_PGM_RSRC2:USER_SGPR: 15
; COMPUTE_PGM_RSRC2:TRAP_HANDLER: 0
; COMPUTE_PGM_RSRC2:TGID_X_EN: 1
; COMPUTE_PGM_RSRC2:TGID_Y_EN: 0
; COMPUTE_PGM_RSRC2:TGID_Z_EN: 0
; COMPUTE_PGM_RSRC2:TIDIG_COMP_CNT: 0
	.section	.text._Z34thread_search_out_of_bounds_kernelIN6common11custom_typeImmLb1EEEjN7rocprim17ROCPRIM_304000_NS7greaterIS2_EEEvPT_S8_PT0_SA_S9_S9_T1_,"axG",@progbits,_Z34thread_search_out_of_bounds_kernelIN6common11custom_typeImmLb1EEEjN7rocprim17ROCPRIM_304000_NS7greaterIS2_EEEvPT_S8_PT0_SA_S9_S9_T1_,comdat
	.protected	_Z34thread_search_out_of_bounds_kernelIN6common11custom_typeImmLb1EEEjN7rocprim17ROCPRIM_304000_NS7greaterIS2_EEEvPT_S8_PT0_SA_S9_S9_T1_ ; -- Begin function _Z34thread_search_out_of_bounds_kernelIN6common11custom_typeImmLb1EEEjN7rocprim17ROCPRIM_304000_NS7greaterIS2_EEEvPT_S8_PT0_SA_S9_S9_T1_
	.globl	_Z34thread_search_out_of_bounds_kernelIN6common11custom_typeImmLb1EEEjN7rocprim17ROCPRIM_304000_NS7greaterIS2_EEEvPT_S8_PT0_SA_S9_S9_T1_
	.p2align	8
	.type	_Z34thread_search_out_of_bounds_kernelIN6common11custom_typeImmLb1EEEjN7rocprim17ROCPRIM_304000_NS7greaterIS2_EEEvPT_S8_PT0_SA_S9_S9_T1_,@function
_Z34thread_search_out_of_bounds_kernelIN6common11custom_typeImmLb1EEEjN7rocprim17ROCPRIM_304000_NS7greaterIS2_EEEvPT_S8_PT0_SA_S9_S9_T1_: ; @_Z34thread_search_out_of_bounds_kernelIN6common11custom_typeImmLb1EEEjN7rocprim17ROCPRIM_304000_NS7greaterIS2_EEEvPT_S8_PT0_SA_S9_S9_T1_
; %bb.0:
	s_clause 0x1
	s_load_b64 s[8:9], s[0:1], 0x20
	s_load_b256 s[0:7], s[0:1], 0x0
	s_waitcnt lgkmcnt(0)
	s_add_i32 s13, s9, s8
	s_delay_alu instid0(SALU_CYCLE_1) | instskip(NEXT) | instid1(SALU_CYCLE_1)
	s_add_i32 s12, s13, 1
	v_sub_nc_u32_e64 v0, s12, s9 clamp
	s_min_u32 s14, s12, s8
	s_delay_alu instid0(VALU_DEP_1) | instid1(SALU_CYCLE_1)
	v_cmp_le_u32_e32 vcc_lo, s14, v0
	v_readfirstlane_b32 s9, v0
	s_cbranch_vccnz .LBB71_3
; %bb.1:
	s_mov_b32 s11, 0
	.p2align	6
.LBB71_2:                               ; =>This Inner Loop Header: Depth=1
	s_delay_alu instid0(VALU_DEP_1) | instskip(SKIP_2) | instid1(SALU_CYCLE_1)
	s_add_i32 s10, s14, s9
	s_mov_b32 s17, s11
	s_lshr_b32 s10, s10, 1
	s_lshl_b64 s[18:19], s[10:11], 4
	s_sub_i32 s16, s13, s10
	s_add_u32 s18, s0, s18
	s_addc_u32 s19, s1, s19
	s_lshl_b64 s[20:21], s[16:17], 4
	s_load_b128 s[16:19], s[18:19], 0x0
	s_add_u32 s20, s2, s20
	s_addc_u32 s21, s3, s21
	s_load_b128 s[20:23], s[20:21], 0x0
	s_waitcnt lgkmcnt(0)
	v_cmp_gt_u64_e64 s15, s[22:23], s[18:19]
	v_cmp_gt_u64_e64 s18, s[20:21], s[16:17]
	s_cmp_eq_u64 s[20:21], s[16:17]
	s_cselect_b32 s16, -1, 0
	s_add_i32 s17, s10, 1
	s_delay_alu instid0(VALU_DEP_2)
	s_and_b32 s15, s16, s15
	s_delay_alu instid0(VALU_DEP_1) | instid1(SALU_CYCLE_1)
	s_or_b32 s15, s18, s15
	s_delay_alu instid0(SALU_CYCLE_1) | instskip(SKIP_2) | instid1(SALU_CYCLE_1)
	s_and_b32 s15, s15, exec_lo
	s_cselect_b32 s14, s10, s14
	s_cselect_b32 s9, s9, s17
	s_cmp_lt_u32 s9, s14
	s_cbranch_scc1 .LBB71_2
.LBB71_3:
	s_delay_alu instid0(VALU_DEP_1)
	s_min_u32 s0, s9, s8
	s_sub_i32 s1, s12, s9
	v_dual_mov_b32 v0, 0 :: v_dual_mov_b32 v1, s0
	v_mov_b32_e32 v2, s1
	s_clause 0x1
	global_store_b32 v0, v1, s[4:5]
	global_store_b32 v0, v2, s[6:7]
	s_nop 0
	s_sendmsg sendmsg(MSG_DEALLOC_VGPRS)
	s_endpgm
	.section	.rodata,"a",@progbits
	.p2align	6, 0x0
	.amdhsa_kernel _Z34thread_search_out_of_bounds_kernelIN6common11custom_typeImmLb1EEEjN7rocprim17ROCPRIM_304000_NS7greaterIS2_EEEvPT_S8_PT0_SA_S9_S9_T1_
		.amdhsa_group_segment_fixed_size 0
		.amdhsa_private_segment_fixed_size 0
		.amdhsa_kernarg_size 44
		.amdhsa_user_sgpr_count 15
		.amdhsa_user_sgpr_dispatch_ptr 0
		.amdhsa_user_sgpr_queue_ptr 0
		.amdhsa_user_sgpr_kernarg_segment_ptr 1
		.amdhsa_user_sgpr_dispatch_id 0
		.amdhsa_user_sgpr_private_segment_size 0
		.amdhsa_wavefront_size32 1
		.amdhsa_uses_dynamic_stack 0
		.amdhsa_enable_private_segment 0
		.amdhsa_system_sgpr_workgroup_id_x 1
		.amdhsa_system_sgpr_workgroup_id_y 0
		.amdhsa_system_sgpr_workgroup_id_z 0
		.amdhsa_system_sgpr_workgroup_info 0
		.amdhsa_system_vgpr_workitem_id 0
		.amdhsa_next_free_vgpr 3
		.amdhsa_next_free_sgpr 24
		.amdhsa_reserve_vcc 1
		.amdhsa_float_round_mode_32 0
		.amdhsa_float_round_mode_16_64 0
		.amdhsa_float_denorm_mode_32 3
		.amdhsa_float_denorm_mode_16_64 3
		.amdhsa_dx10_clamp 1
		.amdhsa_ieee_mode 1
		.amdhsa_fp16_overflow 0
		.amdhsa_workgroup_processor_mode 1
		.amdhsa_memory_ordered 1
		.amdhsa_forward_progress 0
		.amdhsa_shared_vgpr_count 0
		.amdhsa_exception_fp_ieee_invalid_op 0
		.amdhsa_exception_fp_denorm_src 0
		.amdhsa_exception_fp_ieee_div_zero 0
		.amdhsa_exception_fp_ieee_overflow 0
		.amdhsa_exception_fp_ieee_underflow 0
		.amdhsa_exception_fp_ieee_inexact 0
		.amdhsa_exception_int_div_zero 0
	.end_amdhsa_kernel
	.section	.text._Z34thread_search_out_of_bounds_kernelIN6common11custom_typeImmLb1EEEjN7rocprim17ROCPRIM_304000_NS7greaterIS2_EEEvPT_S8_PT0_SA_S9_S9_T1_,"axG",@progbits,_Z34thread_search_out_of_bounds_kernelIN6common11custom_typeImmLb1EEEjN7rocprim17ROCPRIM_304000_NS7greaterIS2_EEEvPT_S8_PT0_SA_S9_S9_T1_,comdat
.Lfunc_end71:
	.size	_Z34thread_search_out_of_bounds_kernelIN6common11custom_typeImmLb1EEEjN7rocprim17ROCPRIM_304000_NS7greaterIS2_EEEvPT_S8_PT0_SA_S9_S9_T1_, .Lfunc_end71-_Z34thread_search_out_of_bounds_kernelIN6common11custom_typeImmLb1EEEjN7rocprim17ROCPRIM_304000_NS7greaterIS2_EEEvPT_S8_PT0_SA_S9_S9_T1_
                                        ; -- End function
	.section	.AMDGPU.csdata,"",@progbits
; Kernel info:
; codeLenInByte = 256
; NumSgprs: 26
; NumVgprs: 3
; ScratchSize: 0
; MemoryBound: 0
; FloatMode: 240
; IeeeMode: 1
; LDSByteSize: 0 bytes/workgroup (compile time only)
; SGPRBlocks: 3
; VGPRBlocks: 0
; NumSGPRsForWavesPerEU: 26
; NumVGPRsForWavesPerEU: 3
; Occupancy: 16
; WaveLimiterHint : 0
; COMPUTE_PGM_RSRC2:SCRATCH_EN: 0
; COMPUTE_PGM_RSRC2:USER_SGPR: 15
; COMPUTE_PGM_RSRC2:TRAP_HANDLER: 0
; COMPUTE_PGM_RSRC2:TGID_X_EN: 1
; COMPUTE_PGM_RSRC2:TGID_Y_EN: 0
; COMPUTE_PGM_RSRC2:TGID_Z_EN: 0
; COMPUTE_PGM_RSRC2:TIDIG_COMP_CNT: 0
	.section	.text._Z20thread_search_kernelIdjN7rocprim17ROCPRIM_304000_NS4lessIdEETnT0_Lj4EEvPT_S6_PS4_S7_S4_S4_T1_,"axG",@progbits,_Z20thread_search_kernelIdjN7rocprim17ROCPRIM_304000_NS4lessIdEETnT0_Lj4EEvPT_S6_PS4_S7_S4_S4_T1_,comdat
	.protected	_Z20thread_search_kernelIdjN7rocprim17ROCPRIM_304000_NS4lessIdEETnT0_Lj4EEvPT_S6_PS4_S7_S4_S4_T1_ ; -- Begin function _Z20thread_search_kernelIdjN7rocprim17ROCPRIM_304000_NS4lessIdEETnT0_Lj4EEvPT_S6_PS4_S7_S4_S4_T1_
	.globl	_Z20thread_search_kernelIdjN7rocprim17ROCPRIM_304000_NS4lessIdEETnT0_Lj4EEvPT_S6_PS4_S7_S4_S4_T1_
	.p2align	8
	.type	_Z20thread_search_kernelIdjN7rocprim17ROCPRIM_304000_NS4lessIdEETnT0_Lj4EEvPT_S6_PS4_S7_S4_S4_T1_,@function
_Z20thread_search_kernelIdjN7rocprim17ROCPRIM_304000_NS4lessIdEETnT0_Lj4EEvPT_S6_PS4_S7_S4_S4_T1_: ; @_Z20thread_search_kernelIdjN7rocprim17ROCPRIM_304000_NS4lessIdEETnT0_Lj4EEvPT_S6_PS4_S7_S4_S4_T1_
; %bb.0:
	s_clause 0x1
	s_load_b32 s2, s[0:1], 0x3c
	s_load_b64 s[8:9], s[0:1], 0x20
	s_waitcnt lgkmcnt(0)
	s_and_b32 s2, s2, 0xffff
	s_delay_alu instid0(SALU_CYCLE_1) | instskip(SKIP_1) | instid1(VALU_DEP_1)
	v_mad_u64_u32 v[1:2], null, s15, s2, v[0:1]
	s_load_b256 s[0:7], s[0:1], 0x0
	v_lshlrev_b32_e32 v0, 2, v1
	s_delay_alu instid0(VALU_DEP_1) | instskip(SKIP_2) | instid1(VALU_DEP_1)
	v_sub_nc_u32_e64 v4, v0, s9 clamp
	v_min_u32_e32 v5, s8, v0
	s_mov_b32 s9, exec_lo
	v_cmpx_lt_u32_e64 v4, v5
	s_cbranch_execz .LBB72_4
; %bb.1:
	v_mov_b32_e32 v3, 0
	s_mov_b32 s10, 0
	.p2align	6
.LBB72_2:                               ; =>This Inner Loop Header: Depth=1
	s_delay_alu instid0(VALU_DEP_1) | instskip(NEXT) | instid1(VALU_DEP_1)
	v_dual_mov_b32 v7, v3 :: v_dual_add_nc_u32 v2, v5, v4
	v_lshrrev_b32_e32 v2, 1, v2
	s_delay_alu instid0(VALU_DEP_1) | instskip(SKIP_1) | instid1(VALU_DEP_2)
	v_xad_u32 v6, v2, -1, v0
	v_lshlrev_b64 v[8:9], 3, v[2:3]
	v_lshlrev_b64 v[6:7], 3, v[6:7]
	s_waitcnt lgkmcnt(0)
	s_delay_alu instid0(VALU_DEP_2) | instskip(NEXT) | instid1(VALU_DEP_3)
	v_add_co_u32 v8, vcc_lo, s0, v8
	v_add_co_ci_u32_e32 v9, vcc_lo, s1, v9, vcc_lo
	s_delay_alu instid0(VALU_DEP_3) | instskip(NEXT) | instid1(VALU_DEP_4)
	v_add_co_u32 v6, vcc_lo, s2, v6
	v_add_co_ci_u32_e32 v7, vcc_lo, s3, v7, vcc_lo
	global_load_b64 v[8:9], v[8:9], off
	global_load_b64 v[6:7], v[6:7], off
	s_waitcnt vmcnt(0)
	v_cmp_lt_f64_e32 vcc_lo, v[6:7], v[8:9]
	v_add_nc_u32_e32 v6, 1, v2
	s_delay_alu instid0(VALU_DEP_1) | instskip(NEXT) | instid1(VALU_DEP_1)
	v_dual_cndmask_b32 v5, v5, v2 :: v_dual_cndmask_b32 v4, v6, v4
	v_cmp_ge_u32_e32 vcc_lo, v4, v5
	s_or_b32 s10, vcc_lo, s10
	s_delay_alu instid0(SALU_CYCLE_1)
	s_and_not1_b32 exec_lo, exec_lo, s10
	s_cbranch_execnz .LBB72_2
; %bb.3:
	s_or_b32 exec_lo, exec_lo, s10
.LBB72_4:
	s_delay_alu instid0(SALU_CYCLE_1) | instskip(SKIP_3) | instid1(VALU_DEP_3)
	s_or_b32 exec_lo, exec_lo, s9
	v_mov_b32_e32 v2, 0
	v_min_u32_e32 v5, s8, v4
	v_sub_nc_u32_e32 v6, v0, v4
	v_lshlrev_b64 v[1:2], 2, v[1:2]
	s_waitcnt lgkmcnt(0)
	s_delay_alu instid0(VALU_DEP_1) | instskip(NEXT) | instid1(VALU_DEP_2)
	v_add_co_u32 v3, vcc_lo, s4, v1
	v_add_co_ci_u32_e32 v4, vcc_lo, s5, v2, vcc_lo
	v_add_co_u32 v0, vcc_lo, s6, v1
	v_add_co_ci_u32_e32 v1, vcc_lo, s7, v2, vcc_lo
	global_store_b32 v[3:4], v5, off
	global_store_b32 v[0:1], v6, off
	s_nop 0
	s_sendmsg sendmsg(MSG_DEALLOC_VGPRS)
	s_endpgm
	.section	.rodata,"a",@progbits
	.p2align	6, 0x0
	.amdhsa_kernel _Z20thread_search_kernelIdjN7rocprim17ROCPRIM_304000_NS4lessIdEETnT0_Lj4EEvPT_S6_PS4_S7_S4_S4_T1_
		.amdhsa_group_segment_fixed_size 0
		.amdhsa_private_segment_fixed_size 0
		.amdhsa_kernarg_size 304
		.amdhsa_user_sgpr_count 15
		.amdhsa_user_sgpr_dispatch_ptr 0
		.amdhsa_user_sgpr_queue_ptr 0
		.amdhsa_user_sgpr_kernarg_segment_ptr 1
		.amdhsa_user_sgpr_dispatch_id 0
		.amdhsa_user_sgpr_private_segment_size 0
		.amdhsa_wavefront_size32 1
		.amdhsa_uses_dynamic_stack 0
		.amdhsa_enable_private_segment 0
		.amdhsa_system_sgpr_workgroup_id_x 1
		.amdhsa_system_sgpr_workgroup_id_y 0
		.amdhsa_system_sgpr_workgroup_id_z 0
		.amdhsa_system_sgpr_workgroup_info 0
		.amdhsa_system_vgpr_workitem_id 0
		.amdhsa_next_free_vgpr 10
		.amdhsa_next_free_sgpr 16
		.amdhsa_reserve_vcc 1
		.amdhsa_float_round_mode_32 0
		.amdhsa_float_round_mode_16_64 0
		.amdhsa_float_denorm_mode_32 3
		.amdhsa_float_denorm_mode_16_64 3
		.amdhsa_dx10_clamp 1
		.amdhsa_ieee_mode 1
		.amdhsa_fp16_overflow 0
		.amdhsa_workgroup_processor_mode 1
		.amdhsa_memory_ordered 1
		.amdhsa_forward_progress 0
		.amdhsa_shared_vgpr_count 0
		.amdhsa_exception_fp_ieee_invalid_op 0
		.amdhsa_exception_fp_denorm_src 0
		.amdhsa_exception_fp_ieee_div_zero 0
		.amdhsa_exception_fp_ieee_overflow 0
		.amdhsa_exception_fp_ieee_underflow 0
		.amdhsa_exception_fp_ieee_inexact 0
		.amdhsa_exception_int_div_zero 0
	.end_amdhsa_kernel
	.section	.text._Z20thread_search_kernelIdjN7rocprim17ROCPRIM_304000_NS4lessIdEETnT0_Lj4EEvPT_S6_PS4_S7_S4_S4_T1_,"axG",@progbits,_Z20thread_search_kernelIdjN7rocprim17ROCPRIM_304000_NS4lessIdEETnT0_Lj4EEvPT_S6_PS4_S7_S4_S4_T1_,comdat
.Lfunc_end72:
	.size	_Z20thread_search_kernelIdjN7rocprim17ROCPRIM_304000_NS4lessIdEETnT0_Lj4EEvPT_S6_PS4_S7_S4_S4_T1_, .Lfunc_end72-_Z20thread_search_kernelIdjN7rocprim17ROCPRIM_304000_NS4lessIdEETnT0_Lj4EEvPT_S6_PS4_S7_S4_S4_T1_
                                        ; -- End function
	.section	.AMDGPU.csdata,"",@progbits
; Kernel info:
; codeLenInByte = 328
; NumSgprs: 18
; NumVgprs: 10
; ScratchSize: 0
; MemoryBound: 0
; FloatMode: 240
; IeeeMode: 1
; LDSByteSize: 0 bytes/workgroup (compile time only)
; SGPRBlocks: 2
; VGPRBlocks: 1
; NumSGPRsForWavesPerEU: 18
; NumVGPRsForWavesPerEU: 10
; Occupancy: 16
; WaveLimiterHint : 0
; COMPUTE_PGM_RSRC2:SCRATCH_EN: 0
; COMPUTE_PGM_RSRC2:USER_SGPR: 15
; COMPUTE_PGM_RSRC2:TRAP_HANDLER: 0
; COMPUTE_PGM_RSRC2:TGID_X_EN: 1
; COMPUTE_PGM_RSRC2:TGID_Y_EN: 0
; COMPUTE_PGM_RSRC2:TGID_Z_EN: 0
; COMPUTE_PGM_RSRC2:TIDIG_COMP_CNT: 0
	.section	.text._Z34thread_search_out_of_bounds_kernelIdjN7rocprim17ROCPRIM_304000_NS4lessIdEEEvPT_S5_PT0_S7_S6_S6_T1_,"axG",@progbits,_Z34thread_search_out_of_bounds_kernelIdjN7rocprim17ROCPRIM_304000_NS4lessIdEEEvPT_S5_PT0_S7_S6_S6_T1_,comdat
	.protected	_Z34thread_search_out_of_bounds_kernelIdjN7rocprim17ROCPRIM_304000_NS4lessIdEEEvPT_S5_PT0_S7_S6_S6_T1_ ; -- Begin function _Z34thread_search_out_of_bounds_kernelIdjN7rocprim17ROCPRIM_304000_NS4lessIdEEEvPT_S5_PT0_S7_S6_S6_T1_
	.globl	_Z34thread_search_out_of_bounds_kernelIdjN7rocprim17ROCPRIM_304000_NS4lessIdEEEvPT_S5_PT0_S7_S6_S6_T1_
	.p2align	8
	.type	_Z34thread_search_out_of_bounds_kernelIdjN7rocprim17ROCPRIM_304000_NS4lessIdEEEvPT_S5_PT0_S7_S6_S6_T1_,@function
_Z34thread_search_out_of_bounds_kernelIdjN7rocprim17ROCPRIM_304000_NS4lessIdEEEvPT_S5_PT0_S7_S6_S6_T1_: ; @_Z34thread_search_out_of_bounds_kernelIdjN7rocprim17ROCPRIM_304000_NS4lessIdEEEvPT_S5_PT0_S7_S6_S6_T1_
; %bb.0:
	s_clause 0x1
	s_load_b64 s[8:9], s[0:1], 0x20
	s_load_b256 s[0:7], s[0:1], 0x0
	s_waitcnt lgkmcnt(0)
	s_add_i32 s13, s9, s8
	s_delay_alu instid0(SALU_CYCLE_1) | instskip(NEXT) | instid1(SALU_CYCLE_1)
	s_add_i32 s12, s13, 1
	v_sub_nc_u32_e64 v0, s12, s9 clamp
	s_min_u32 s14, s12, s8
	s_delay_alu instid0(VALU_DEP_1) | instid1(SALU_CYCLE_1)
	v_cmp_le_u32_e32 vcc_lo, s14, v0
	v_readfirstlane_b32 s9, v0
	s_cbranch_vccnz .LBB73_3
; %bb.1:
	s_mov_b32 s11, 0
	.p2align	6
.LBB73_2:                               ; =>This Inner Loop Header: Depth=1
	s_delay_alu instid0(VALU_DEP_1) | instskip(SKIP_2) | instid1(SALU_CYCLE_1)
	s_add_i32 s10, s14, s9
	s_mov_b32 s17, s11
	s_lshr_b32 s10, s10, 1
	s_lshl_b64 s[18:19], s[10:11], 3
	s_sub_i32 s16, s13, s10
	s_add_u32 s18, s0, s18
	s_addc_u32 s19, s1, s19
	s_lshl_b64 s[16:17], s[16:17], 3
	s_load_b64 s[18:19], s[18:19], 0x0
	s_add_u32 s16, s2, s16
	s_addc_u32 s17, s3, s17
	s_load_b64 s[16:17], s[16:17], 0x0
	s_waitcnt lgkmcnt(0)
	v_cmp_lt_f64_e64 s15, s[16:17], s[18:19]
	s_add_i32 s16, s10, 1
	s_delay_alu instid0(VALU_DEP_1) | instskip(SKIP_2) | instid1(SALU_CYCLE_1)
	s_and_b32 s15, s15, exec_lo
	s_cselect_b32 s14, s10, s14
	s_cselect_b32 s9, s9, s16
	s_cmp_lt_u32 s9, s14
	s_cbranch_scc1 .LBB73_2
.LBB73_3:
	s_delay_alu instid0(VALU_DEP_1)
	s_min_u32 s0, s9, s8
	s_sub_i32 s1, s12, s9
	v_dual_mov_b32 v0, 0 :: v_dual_mov_b32 v1, s0
	v_mov_b32_e32 v2, s1
	s_clause 0x1
	global_store_b32 v0, v1, s[4:5]
	global_store_b32 v0, v2, s[6:7]
	s_nop 0
	s_sendmsg sendmsg(MSG_DEALLOC_VGPRS)
	s_endpgm
	.section	.rodata,"a",@progbits
	.p2align	6, 0x0
	.amdhsa_kernel _Z34thread_search_out_of_bounds_kernelIdjN7rocprim17ROCPRIM_304000_NS4lessIdEEEvPT_S5_PT0_S7_S6_S6_T1_
		.amdhsa_group_segment_fixed_size 0
		.amdhsa_private_segment_fixed_size 0
		.amdhsa_kernarg_size 44
		.amdhsa_user_sgpr_count 15
		.amdhsa_user_sgpr_dispatch_ptr 0
		.amdhsa_user_sgpr_queue_ptr 0
		.amdhsa_user_sgpr_kernarg_segment_ptr 1
		.amdhsa_user_sgpr_dispatch_id 0
		.amdhsa_user_sgpr_private_segment_size 0
		.amdhsa_wavefront_size32 1
		.amdhsa_uses_dynamic_stack 0
		.amdhsa_enable_private_segment 0
		.amdhsa_system_sgpr_workgroup_id_x 1
		.amdhsa_system_sgpr_workgroup_id_y 0
		.amdhsa_system_sgpr_workgroup_id_z 0
		.amdhsa_system_sgpr_workgroup_info 0
		.amdhsa_system_vgpr_workitem_id 0
		.amdhsa_next_free_vgpr 3
		.amdhsa_next_free_sgpr 20
		.amdhsa_reserve_vcc 1
		.amdhsa_float_round_mode_32 0
		.amdhsa_float_round_mode_16_64 0
		.amdhsa_float_denorm_mode_32 3
		.amdhsa_float_denorm_mode_16_64 3
		.amdhsa_dx10_clamp 1
		.amdhsa_ieee_mode 1
		.amdhsa_fp16_overflow 0
		.amdhsa_workgroup_processor_mode 1
		.amdhsa_memory_ordered 1
		.amdhsa_forward_progress 0
		.amdhsa_shared_vgpr_count 0
		.amdhsa_exception_fp_ieee_invalid_op 0
		.amdhsa_exception_fp_denorm_src 0
		.amdhsa_exception_fp_ieee_div_zero 0
		.amdhsa_exception_fp_ieee_overflow 0
		.amdhsa_exception_fp_ieee_underflow 0
		.amdhsa_exception_fp_ieee_inexact 0
		.amdhsa_exception_int_div_zero 0
	.end_amdhsa_kernel
	.section	.text._Z34thread_search_out_of_bounds_kernelIdjN7rocprim17ROCPRIM_304000_NS4lessIdEEEvPT_S5_PT0_S7_S6_S6_T1_,"axG",@progbits,_Z34thread_search_out_of_bounds_kernelIdjN7rocprim17ROCPRIM_304000_NS4lessIdEEEvPT_S5_PT0_S7_S6_S6_T1_,comdat
.Lfunc_end73:
	.size	_Z34thread_search_out_of_bounds_kernelIdjN7rocprim17ROCPRIM_304000_NS4lessIdEEEvPT_S5_PT0_S7_S6_S6_T1_, .Lfunc_end73-_Z34thread_search_out_of_bounds_kernelIdjN7rocprim17ROCPRIM_304000_NS4lessIdEEEvPT_S5_PT0_S7_S6_S6_T1_
                                        ; -- End function
	.section	.AMDGPU.csdata,"",@progbits
; Kernel info:
; codeLenInByte = 224
; NumSgprs: 22
; NumVgprs: 3
; ScratchSize: 0
; MemoryBound: 0
; FloatMode: 240
; IeeeMode: 1
; LDSByteSize: 0 bytes/workgroup (compile time only)
; SGPRBlocks: 2
; VGPRBlocks: 0
; NumSGPRsForWavesPerEU: 22
; NumVGPRsForWavesPerEU: 3
; Occupancy: 16
; WaveLimiterHint : 0
; COMPUTE_PGM_RSRC2:SCRATCH_EN: 0
; COMPUTE_PGM_RSRC2:USER_SGPR: 15
; COMPUTE_PGM_RSRC2:TRAP_HANDLER: 0
; COMPUTE_PGM_RSRC2:TGID_X_EN: 1
; COMPUTE_PGM_RSRC2:TGID_Y_EN: 0
; COMPUTE_PGM_RSRC2:TGID_Z_EN: 0
; COMPUTE_PGM_RSRC2:TIDIG_COMP_CNT: 0
	.section	.text._Z20thread_search_kernelIdjN7rocprim17ROCPRIM_304000_NS7greaterIdEETnT0_Lj4EEvPT_S6_PS4_S7_S4_S4_T1_,"axG",@progbits,_Z20thread_search_kernelIdjN7rocprim17ROCPRIM_304000_NS7greaterIdEETnT0_Lj4EEvPT_S6_PS4_S7_S4_S4_T1_,comdat
	.protected	_Z20thread_search_kernelIdjN7rocprim17ROCPRIM_304000_NS7greaterIdEETnT0_Lj4EEvPT_S6_PS4_S7_S4_S4_T1_ ; -- Begin function _Z20thread_search_kernelIdjN7rocprim17ROCPRIM_304000_NS7greaterIdEETnT0_Lj4EEvPT_S6_PS4_S7_S4_S4_T1_
	.globl	_Z20thread_search_kernelIdjN7rocprim17ROCPRIM_304000_NS7greaterIdEETnT0_Lj4EEvPT_S6_PS4_S7_S4_S4_T1_
	.p2align	8
	.type	_Z20thread_search_kernelIdjN7rocprim17ROCPRIM_304000_NS7greaterIdEETnT0_Lj4EEvPT_S6_PS4_S7_S4_S4_T1_,@function
_Z20thread_search_kernelIdjN7rocprim17ROCPRIM_304000_NS7greaterIdEETnT0_Lj4EEvPT_S6_PS4_S7_S4_S4_T1_: ; @_Z20thread_search_kernelIdjN7rocprim17ROCPRIM_304000_NS7greaterIdEETnT0_Lj4EEvPT_S6_PS4_S7_S4_S4_T1_
; %bb.0:
	s_clause 0x1
	s_load_b32 s2, s[0:1], 0x3c
	s_load_b64 s[8:9], s[0:1], 0x20
	s_waitcnt lgkmcnt(0)
	s_and_b32 s2, s2, 0xffff
	s_delay_alu instid0(SALU_CYCLE_1) | instskip(SKIP_1) | instid1(VALU_DEP_1)
	v_mad_u64_u32 v[1:2], null, s15, s2, v[0:1]
	s_load_b256 s[0:7], s[0:1], 0x0
	v_lshlrev_b32_e32 v0, 2, v1
	s_delay_alu instid0(VALU_DEP_1) | instskip(SKIP_2) | instid1(VALU_DEP_1)
	v_sub_nc_u32_e64 v4, v0, s9 clamp
	v_min_u32_e32 v5, s8, v0
	s_mov_b32 s9, exec_lo
	v_cmpx_lt_u32_e64 v4, v5
	s_cbranch_execz .LBB74_4
; %bb.1:
	v_mov_b32_e32 v3, 0
	s_mov_b32 s10, 0
	.p2align	6
.LBB74_2:                               ; =>This Inner Loop Header: Depth=1
	s_delay_alu instid0(VALU_DEP_1) | instskip(NEXT) | instid1(VALU_DEP_1)
	v_dual_mov_b32 v7, v3 :: v_dual_add_nc_u32 v2, v5, v4
	v_lshrrev_b32_e32 v2, 1, v2
	s_delay_alu instid0(VALU_DEP_1) | instskip(SKIP_1) | instid1(VALU_DEP_2)
	v_xad_u32 v6, v2, -1, v0
	v_lshlrev_b64 v[8:9], 3, v[2:3]
	v_lshlrev_b64 v[6:7], 3, v[6:7]
	s_waitcnt lgkmcnt(0)
	s_delay_alu instid0(VALU_DEP_2) | instskip(NEXT) | instid1(VALU_DEP_3)
	v_add_co_u32 v8, vcc_lo, s0, v8
	v_add_co_ci_u32_e32 v9, vcc_lo, s1, v9, vcc_lo
	s_delay_alu instid0(VALU_DEP_3) | instskip(NEXT) | instid1(VALU_DEP_4)
	v_add_co_u32 v6, vcc_lo, s2, v6
	v_add_co_ci_u32_e32 v7, vcc_lo, s3, v7, vcc_lo
	global_load_b64 v[8:9], v[8:9], off
	global_load_b64 v[6:7], v[6:7], off
	s_waitcnt vmcnt(0)
	v_cmp_gt_f64_e32 vcc_lo, v[6:7], v[8:9]
	v_add_nc_u32_e32 v6, 1, v2
	s_delay_alu instid0(VALU_DEP_1) | instskip(NEXT) | instid1(VALU_DEP_1)
	v_dual_cndmask_b32 v5, v5, v2 :: v_dual_cndmask_b32 v4, v6, v4
	v_cmp_ge_u32_e32 vcc_lo, v4, v5
	s_or_b32 s10, vcc_lo, s10
	s_delay_alu instid0(SALU_CYCLE_1)
	s_and_not1_b32 exec_lo, exec_lo, s10
	s_cbranch_execnz .LBB74_2
; %bb.3:
	s_or_b32 exec_lo, exec_lo, s10
.LBB74_4:
	s_delay_alu instid0(SALU_CYCLE_1) | instskip(SKIP_3) | instid1(VALU_DEP_3)
	s_or_b32 exec_lo, exec_lo, s9
	v_mov_b32_e32 v2, 0
	v_min_u32_e32 v5, s8, v4
	v_sub_nc_u32_e32 v6, v0, v4
	v_lshlrev_b64 v[1:2], 2, v[1:2]
	s_waitcnt lgkmcnt(0)
	s_delay_alu instid0(VALU_DEP_1) | instskip(NEXT) | instid1(VALU_DEP_2)
	v_add_co_u32 v3, vcc_lo, s4, v1
	v_add_co_ci_u32_e32 v4, vcc_lo, s5, v2, vcc_lo
	v_add_co_u32 v0, vcc_lo, s6, v1
	v_add_co_ci_u32_e32 v1, vcc_lo, s7, v2, vcc_lo
	global_store_b32 v[3:4], v5, off
	global_store_b32 v[0:1], v6, off
	s_nop 0
	s_sendmsg sendmsg(MSG_DEALLOC_VGPRS)
	s_endpgm
	.section	.rodata,"a",@progbits
	.p2align	6, 0x0
	.amdhsa_kernel _Z20thread_search_kernelIdjN7rocprim17ROCPRIM_304000_NS7greaterIdEETnT0_Lj4EEvPT_S6_PS4_S7_S4_S4_T1_
		.amdhsa_group_segment_fixed_size 0
		.amdhsa_private_segment_fixed_size 0
		.amdhsa_kernarg_size 304
		.amdhsa_user_sgpr_count 15
		.amdhsa_user_sgpr_dispatch_ptr 0
		.amdhsa_user_sgpr_queue_ptr 0
		.amdhsa_user_sgpr_kernarg_segment_ptr 1
		.amdhsa_user_sgpr_dispatch_id 0
		.amdhsa_user_sgpr_private_segment_size 0
		.amdhsa_wavefront_size32 1
		.amdhsa_uses_dynamic_stack 0
		.amdhsa_enable_private_segment 0
		.amdhsa_system_sgpr_workgroup_id_x 1
		.amdhsa_system_sgpr_workgroup_id_y 0
		.amdhsa_system_sgpr_workgroup_id_z 0
		.amdhsa_system_sgpr_workgroup_info 0
		.amdhsa_system_vgpr_workitem_id 0
		.amdhsa_next_free_vgpr 10
		.amdhsa_next_free_sgpr 16
		.amdhsa_reserve_vcc 1
		.amdhsa_float_round_mode_32 0
		.amdhsa_float_round_mode_16_64 0
		.amdhsa_float_denorm_mode_32 3
		.amdhsa_float_denorm_mode_16_64 3
		.amdhsa_dx10_clamp 1
		.amdhsa_ieee_mode 1
		.amdhsa_fp16_overflow 0
		.amdhsa_workgroup_processor_mode 1
		.amdhsa_memory_ordered 1
		.amdhsa_forward_progress 0
		.amdhsa_shared_vgpr_count 0
		.amdhsa_exception_fp_ieee_invalid_op 0
		.amdhsa_exception_fp_denorm_src 0
		.amdhsa_exception_fp_ieee_div_zero 0
		.amdhsa_exception_fp_ieee_overflow 0
		.amdhsa_exception_fp_ieee_underflow 0
		.amdhsa_exception_fp_ieee_inexact 0
		.amdhsa_exception_int_div_zero 0
	.end_amdhsa_kernel
	.section	.text._Z20thread_search_kernelIdjN7rocprim17ROCPRIM_304000_NS7greaterIdEETnT0_Lj4EEvPT_S6_PS4_S7_S4_S4_T1_,"axG",@progbits,_Z20thread_search_kernelIdjN7rocprim17ROCPRIM_304000_NS7greaterIdEETnT0_Lj4EEvPT_S6_PS4_S7_S4_S4_T1_,comdat
.Lfunc_end74:
	.size	_Z20thread_search_kernelIdjN7rocprim17ROCPRIM_304000_NS7greaterIdEETnT0_Lj4EEvPT_S6_PS4_S7_S4_S4_T1_, .Lfunc_end74-_Z20thread_search_kernelIdjN7rocprim17ROCPRIM_304000_NS7greaterIdEETnT0_Lj4EEvPT_S6_PS4_S7_S4_S4_T1_
                                        ; -- End function
	.section	.AMDGPU.csdata,"",@progbits
; Kernel info:
; codeLenInByte = 328
; NumSgprs: 18
; NumVgprs: 10
; ScratchSize: 0
; MemoryBound: 0
; FloatMode: 240
; IeeeMode: 1
; LDSByteSize: 0 bytes/workgroup (compile time only)
; SGPRBlocks: 2
; VGPRBlocks: 1
; NumSGPRsForWavesPerEU: 18
; NumVGPRsForWavesPerEU: 10
; Occupancy: 16
; WaveLimiterHint : 0
; COMPUTE_PGM_RSRC2:SCRATCH_EN: 0
; COMPUTE_PGM_RSRC2:USER_SGPR: 15
; COMPUTE_PGM_RSRC2:TRAP_HANDLER: 0
; COMPUTE_PGM_RSRC2:TGID_X_EN: 1
; COMPUTE_PGM_RSRC2:TGID_Y_EN: 0
; COMPUTE_PGM_RSRC2:TGID_Z_EN: 0
; COMPUTE_PGM_RSRC2:TIDIG_COMP_CNT: 0
	.section	.text._Z34thread_search_out_of_bounds_kernelIdjN7rocprim17ROCPRIM_304000_NS7greaterIdEEEvPT_S5_PT0_S7_S6_S6_T1_,"axG",@progbits,_Z34thread_search_out_of_bounds_kernelIdjN7rocprim17ROCPRIM_304000_NS7greaterIdEEEvPT_S5_PT0_S7_S6_S6_T1_,comdat
	.protected	_Z34thread_search_out_of_bounds_kernelIdjN7rocprim17ROCPRIM_304000_NS7greaterIdEEEvPT_S5_PT0_S7_S6_S6_T1_ ; -- Begin function _Z34thread_search_out_of_bounds_kernelIdjN7rocprim17ROCPRIM_304000_NS7greaterIdEEEvPT_S5_PT0_S7_S6_S6_T1_
	.globl	_Z34thread_search_out_of_bounds_kernelIdjN7rocprim17ROCPRIM_304000_NS7greaterIdEEEvPT_S5_PT0_S7_S6_S6_T1_
	.p2align	8
	.type	_Z34thread_search_out_of_bounds_kernelIdjN7rocprim17ROCPRIM_304000_NS7greaterIdEEEvPT_S5_PT0_S7_S6_S6_T1_,@function
_Z34thread_search_out_of_bounds_kernelIdjN7rocprim17ROCPRIM_304000_NS7greaterIdEEEvPT_S5_PT0_S7_S6_S6_T1_: ; @_Z34thread_search_out_of_bounds_kernelIdjN7rocprim17ROCPRIM_304000_NS7greaterIdEEEvPT_S5_PT0_S7_S6_S6_T1_
; %bb.0:
	s_clause 0x1
	s_load_b64 s[8:9], s[0:1], 0x20
	s_load_b256 s[0:7], s[0:1], 0x0
	s_waitcnt lgkmcnt(0)
	s_add_i32 s13, s9, s8
	s_delay_alu instid0(SALU_CYCLE_1) | instskip(NEXT) | instid1(SALU_CYCLE_1)
	s_add_i32 s12, s13, 1
	v_sub_nc_u32_e64 v0, s12, s9 clamp
	s_min_u32 s14, s12, s8
	s_delay_alu instid0(VALU_DEP_1) | instid1(SALU_CYCLE_1)
	v_cmp_le_u32_e32 vcc_lo, s14, v0
	v_readfirstlane_b32 s9, v0
	s_cbranch_vccnz .LBB75_3
; %bb.1:
	s_mov_b32 s11, 0
	.p2align	6
.LBB75_2:                               ; =>This Inner Loop Header: Depth=1
	s_delay_alu instid0(VALU_DEP_1) | instskip(SKIP_2) | instid1(SALU_CYCLE_1)
	s_add_i32 s10, s14, s9
	s_mov_b32 s17, s11
	s_lshr_b32 s10, s10, 1
	s_lshl_b64 s[18:19], s[10:11], 3
	s_sub_i32 s16, s13, s10
	s_add_u32 s18, s0, s18
	s_addc_u32 s19, s1, s19
	s_lshl_b64 s[16:17], s[16:17], 3
	s_load_b64 s[18:19], s[18:19], 0x0
	s_add_u32 s16, s2, s16
	s_addc_u32 s17, s3, s17
	s_load_b64 s[16:17], s[16:17], 0x0
	s_waitcnt lgkmcnt(0)
	v_cmp_gt_f64_e64 s15, s[16:17], s[18:19]
	s_add_i32 s16, s10, 1
	s_delay_alu instid0(VALU_DEP_1) | instskip(SKIP_2) | instid1(SALU_CYCLE_1)
	s_and_b32 s15, s15, exec_lo
	s_cselect_b32 s14, s10, s14
	s_cselect_b32 s9, s9, s16
	s_cmp_lt_u32 s9, s14
	s_cbranch_scc1 .LBB75_2
.LBB75_3:
	s_delay_alu instid0(VALU_DEP_1)
	s_min_u32 s0, s9, s8
	s_sub_i32 s1, s12, s9
	v_dual_mov_b32 v0, 0 :: v_dual_mov_b32 v1, s0
	v_mov_b32_e32 v2, s1
	s_clause 0x1
	global_store_b32 v0, v1, s[4:5]
	global_store_b32 v0, v2, s[6:7]
	s_nop 0
	s_sendmsg sendmsg(MSG_DEALLOC_VGPRS)
	s_endpgm
	.section	.rodata,"a",@progbits
	.p2align	6, 0x0
	.amdhsa_kernel _Z34thread_search_out_of_bounds_kernelIdjN7rocprim17ROCPRIM_304000_NS7greaterIdEEEvPT_S5_PT0_S7_S6_S6_T1_
		.amdhsa_group_segment_fixed_size 0
		.amdhsa_private_segment_fixed_size 0
		.amdhsa_kernarg_size 44
		.amdhsa_user_sgpr_count 15
		.amdhsa_user_sgpr_dispatch_ptr 0
		.amdhsa_user_sgpr_queue_ptr 0
		.amdhsa_user_sgpr_kernarg_segment_ptr 1
		.amdhsa_user_sgpr_dispatch_id 0
		.amdhsa_user_sgpr_private_segment_size 0
		.amdhsa_wavefront_size32 1
		.amdhsa_uses_dynamic_stack 0
		.amdhsa_enable_private_segment 0
		.amdhsa_system_sgpr_workgroup_id_x 1
		.amdhsa_system_sgpr_workgroup_id_y 0
		.amdhsa_system_sgpr_workgroup_id_z 0
		.amdhsa_system_sgpr_workgroup_info 0
		.amdhsa_system_vgpr_workitem_id 0
		.amdhsa_next_free_vgpr 3
		.amdhsa_next_free_sgpr 20
		.amdhsa_reserve_vcc 1
		.amdhsa_float_round_mode_32 0
		.amdhsa_float_round_mode_16_64 0
		.amdhsa_float_denorm_mode_32 3
		.amdhsa_float_denorm_mode_16_64 3
		.amdhsa_dx10_clamp 1
		.amdhsa_ieee_mode 1
		.amdhsa_fp16_overflow 0
		.amdhsa_workgroup_processor_mode 1
		.amdhsa_memory_ordered 1
		.amdhsa_forward_progress 0
		.amdhsa_shared_vgpr_count 0
		.amdhsa_exception_fp_ieee_invalid_op 0
		.amdhsa_exception_fp_denorm_src 0
		.amdhsa_exception_fp_ieee_div_zero 0
		.amdhsa_exception_fp_ieee_overflow 0
		.amdhsa_exception_fp_ieee_underflow 0
		.amdhsa_exception_fp_ieee_inexact 0
		.amdhsa_exception_int_div_zero 0
	.end_amdhsa_kernel
	.section	.text._Z34thread_search_out_of_bounds_kernelIdjN7rocprim17ROCPRIM_304000_NS7greaterIdEEEvPT_S5_PT0_S7_S6_S6_T1_,"axG",@progbits,_Z34thread_search_out_of_bounds_kernelIdjN7rocprim17ROCPRIM_304000_NS7greaterIdEEEvPT_S5_PT0_S7_S6_S6_T1_,comdat
.Lfunc_end75:
	.size	_Z34thread_search_out_of_bounds_kernelIdjN7rocprim17ROCPRIM_304000_NS7greaterIdEEEvPT_S5_PT0_S7_S6_S6_T1_, .Lfunc_end75-_Z34thread_search_out_of_bounds_kernelIdjN7rocprim17ROCPRIM_304000_NS7greaterIdEEEvPT_S5_PT0_S7_S6_S6_T1_
                                        ; -- End function
	.section	.AMDGPU.csdata,"",@progbits
; Kernel info:
; codeLenInByte = 224
; NumSgprs: 22
; NumVgprs: 3
; ScratchSize: 0
; MemoryBound: 0
; FloatMode: 240
; IeeeMode: 1
; LDSByteSize: 0 bytes/workgroup (compile time only)
; SGPRBlocks: 2
; VGPRBlocks: 0
; NumSGPRsForWavesPerEU: 22
; NumVGPRsForWavesPerEU: 3
; Occupancy: 16
; WaveLimiterHint : 0
; COMPUTE_PGM_RSRC2:SCRATCH_EN: 0
; COMPUTE_PGM_RSRC2:USER_SGPR: 15
; COMPUTE_PGM_RSRC2:TRAP_HANDLER: 0
; COMPUTE_PGM_RSRC2:TGID_X_EN: 1
; COMPUTE_PGM_RSRC2:TGID_Y_EN: 0
; COMPUTE_PGM_RSRC2:TGID_Z_EN: 0
; COMPUTE_PGM_RSRC2:TIDIG_COMP_CNT: 0
	.section	.text._Z20thread_search_kernelIfjN7rocprim17ROCPRIM_304000_NS4lessIfEETnT0_Lj4EEvPT_S6_PS4_S7_S4_S4_T1_,"axG",@progbits,_Z20thread_search_kernelIfjN7rocprim17ROCPRIM_304000_NS4lessIfEETnT0_Lj4EEvPT_S6_PS4_S7_S4_S4_T1_,comdat
	.protected	_Z20thread_search_kernelIfjN7rocprim17ROCPRIM_304000_NS4lessIfEETnT0_Lj4EEvPT_S6_PS4_S7_S4_S4_T1_ ; -- Begin function _Z20thread_search_kernelIfjN7rocprim17ROCPRIM_304000_NS4lessIfEETnT0_Lj4EEvPT_S6_PS4_S7_S4_S4_T1_
	.globl	_Z20thread_search_kernelIfjN7rocprim17ROCPRIM_304000_NS4lessIfEETnT0_Lj4EEvPT_S6_PS4_S7_S4_S4_T1_
	.p2align	8
	.type	_Z20thread_search_kernelIfjN7rocprim17ROCPRIM_304000_NS4lessIfEETnT0_Lj4EEvPT_S6_PS4_S7_S4_S4_T1_,@function
_Z20thread_search_kernelIfjN7rocprim17ROCPRIM_304000_NS4lessIfEETnT0_Lj4EEvPT_S6_PS4_S7_S4_S4_T1_: ; @_Z20thread_search_kernelIfjN7rocprim17ROCPRIM_304000_NS4lessIfEETnT0_Lj4EEvPT_S6_PS4_S7_S4_S4_T1_
; %bb.0:
	s_clause 0x1
	s_load_b32 s2, s[0:1], 0x3c
	s_load_b64 s[8:9], s[0:1], 0x20
	s_waitcnt lgkmcnt(0)
	s_and_b32 s2, s2, 0xffff
	s_delay_alu instid0(SALU_CYCLE_1) | instskip(SKIP_1) | instid1(VALU_DEP_1)
	v_mad_u64_u32 v[1:2], null, s15, s2, v[0:1]
	s_load_b256 s[0:7], s[0:1], 0x0
	v_lshlrev_b32_e32 v0, 2, v1
	s_delay_alu instid0(VALU_DEP_1) | instskip(SKIP_2) | instid1(VALU_DEP_1)
	v_sub_nc_u32_e64 v4, v0, s9 clamp
	v_min_u32_e32 v5, s8, v0
	s_mov_b32 s9, exec_lo
	v_cmpx_lt_u32_e64 v4, v5
	s_cbranch_execz .LBB76_4
; %bb.1:
	v_mov_b32_e32 v3, 0
	s_mov_b32 s10, 0
	.p2align	6
.LBB76_2:                               ; =>This Inner Loop Header: Depth=1
	s_delay_alu instid0(VALU_DEP_1) | instskip(NEXT) | instid1(VALU_DEP_1)
	v_dual_mov_b32 v7, v3 :: v_dual_add_nc_u32 v2, v5, v4
	v_lshrrev_b32_e32 v2, 1, v2
	s_delay_alu instid0(VALU_DEP_1) | instskip(SKIP_1) | instid1(VALU_DEP_2)
	v_xad_u32 v6, v2, -1, v0
	v_lshlrev_b64 v[8:9], 2, v[2:3]
	v_lshlrev_b64 v[6:7], 2, v[6:7]
	s_waitcnt lgkmcnt(0)
	s_delay_alu instid0(VALU_DEP_2) | instskip(NEXT) | instid1(VALU_DEP_3)
	v_add_co_u32 v8, vcc_lo, s0, v8
	v_add_co_ci_u32_e32 v9, vcc_lo, s1, v9, vcc_lo
	s_delay_alu instid0(VALU_DEP_3) | instskip(NEXT) | instid1(VALU_DEP_4)
	v_add_co_u32 v6, vcc_lo, s2, v6
	v_add_co_ci_u32_e32 v7, vcc_lo, s3, v7, vcc_lo
	global_load_b32 v8, v[8:9], off
	global_load_b32 v6, v[6:7], off
	v_add_nc_u32_e32 v7, 1, v2
	s_waitcnt vmcnt(0)
	v_cmp_lt_f32_e32 vcc_lo, v6, v8
	s_delay_alu instid0(VALU_DEP_2) | instskip(NEXT) | instid1(VALU_DEP_1)
	v_dual_cndmask_b32 v5, v5, v2 :: v_dual_cndmask_b32 v4, v7, v4
	v_cmp_ge_u32_e32 vcc_lo, v4, v5
	s_or_b32 s10, vcc_lo, s10
	s_delay_alu instid0(SALU_CYCLE_1)
	s_and_not1_b32 exec_lo, exec_lo, s10
	s_cbranch_execnz .LBB76_2
; %bb.3:
	s_or_b32 exec_lo, exec_lo, s10
.LBB76_4:
	s_delay_alu instid0(SALU_CYCLE_1) | instskip(SKIP_3) | instid1(VALU_DEP_3)
	s_or_b32 exec_lo, exec_lo, s9
	v_mov_b32_e32 v2, 0
	v_min_u32_e32 v5, s8, v4
	v_sub_nc_u32_e32 v6, v0, v4
	v_lshlrev_b64 v[1:2], 2, v[1:2]
	s_waitcnt lgkmcnt(0)
	s_delay_alu instid0(VALU_DEP_1) | instskip(NEXT) | instid1(VALU_DEP_2)
	v_add_co_u32 v3, vcc_lo, s4, v1
	v_add_co_ci_u32_e32 v4, vcc_lo, s5, v2, vcc_lo
	v_add_co_u32 v0, vcc_lo, s6, v1
	v_add_co_ci_u32_e32 v1, vcc_lo, s7, v2, vcc_lo
	global_store_b32 v[3:4], v5, off
	global_store_b32 v[0:1], v6, off
	s_nop 0
	s_sendmsg sendmsg(MSG_DEALLOC_VGPRS)
	s_endpgm
	.section	.rodata,"a",@progbits
	.p2align	6, 0x0
	.amdhsa_kernel _Z20thread_search_kernelIfjN7rocprim17ROCPRIM_304000_NS4lessIfEETnT0_Lj4EEvPT_S6_PS4_S7_S4_S4_T1_
		.amdhsa_group_segment_fixed_size 0
		.amdhsa_private_segment_fixed_size 0
		.amdhsa_kernarg_size 304
		.amdhsa_user_sgpr_count 15
		.amdhsa_user_sgpr_dispatch_ptr 0
		.amdhsa_user_sgpr_queue_ptr 0
		.amdhsa_user_sgpr_kernarg_segment_ptr 1
		.amdhsa_user_sgpr_dispatch_id 0
		.amdhsa_user_sgpr_private_segment_size 0
		.amdhsa_wavefront_size32 1
		.amdhsa_uses_dynamic_stack 0
		.amdhsa_enable_private_segment 0
		.amdhsa_system_sgpr_workgroup_id_x 1
		.amdhsa_system_sgpr_workgroup_id_y 0
		.amdhsa_system_sgpr_workgroup_id_z 0
		.amdhsa_system_sgpr_workgroup_info 0
		.amdhsa_system_vgpr_workitem_id 0
		.amdhsa_next_free_vgpr 10
		.amdhsa_next_free_sgpr 16
		.amdhsa_reserve_vcc 1
		.amdhsa_float_round_mode_32 0
		.amdhsa_float_round_mode_16_64 0
		.amdhsa_float_denorm_mode_32 3
		.amdhsa_float_denorm_mode_16_64 3
		.amdhsa_dx10_clamp 1
		.amdhsa_ieee_mode 1
		.amdhsa_fp16_overflow 0
		.amdhsa_workgroup_processor_mode 1
		.amdhsa_memory_ordered 1
		.amdhsa_forward_progress 0
		.amdhsa_shared_vgpr_count 0
		.amdhsa_exception_fp_ieee_invalid_op 0
		.amdhsa_exception_fp_denorm_src 0
		.amdhsa_exception_fp_ieee_div_zero 0
		.amdhsa_exception_fp_ieee_overflow 0
		.amdhsa_exception_fp_ieee_underflow 0
		.amdhsa_exception_fp_ieee_inexact 0
		.amdhsa_exception_int_div_zero 0
	.end_amdhsa_kernel
	.section	.text._Z20thread_search_kernelIfjN7rocprim17ROCPRIM_304000_NS4lessIfEETnT0_Lj4EEvPT_S6_PS4_S7_S4_S4_T1_,"axG",@progbits,_Z20thread_search_kernelIfjN7rocprim17ROCPRIM_304000_NS4lessIfEETnT0_Lj4EEvPT_S6_PS4_S7_S4_S4_T1_,comdat
.Lfunc_end76:
	.size	_Z20thread_search_kernelIfjN7rocprim17ROCPRIM_304000_NS4lessIfEETnT0_Lj4EEvPT_S6_PS4_S7_S4_S4_T1_, .Lfunc_end76-_Z20thread_search_kernelIfjN7rocprim17ROCPRIM_304000_NS4lessIfEETnT0_Lj4EEvPT_S6_PS4_S7_S4_S4_T1_
                                        ; -- End function
	.section	.AMDGPU.csdata,"",@progbits
; Kernel info:
; codeLenInByte = 328
; NumSgprs: 18
; NumVgprs: 10
; ScratchSize: 0
; MemoryBound: 0
; FloatMode: 240
; IeeeMode: 1
; LDSByteSize: 0 bytes/workgroup (compile time only)
; SGPRBlocks: 2
; VGPRBlocks: 1
; NumSGPRsForWavesPerEU: 18
; NumVGPRsForWavesPerEU: 10
; Occupancy: 16
; WaveLimiterHint : 0
; COMPUTE_PGM_RSRC2:SCRATCH_EN: 0
; COMPUTE_PGM_RSRC2:USER_SGPR: 15
; COMPUTE_PGM_RSRC2:TRAP_HANDLER: 0
; COMPUTE_PGM_RSRC2:TGID_X_EN: 1
; COMPUTE_PGM_RSRC2:TGID_Y_EN: 0
; COMPUTE_PGM_RSRC2:TGID_Z_EN: 0
; COMPUTE_PGM_RSRC2:TIDIG_COMP_CNT: 0
	.section	.text._Z34thread_search_out_of_bounds_kernelIfjN7rocprim17ROCPRIM_304000_NS4lessIfEEEvPT_S5_PT0_S7_S6_S6_T1_,"axG",@progbits,_Z34thread_search_out_of_bounds_kernelIfjN7rocprim17ROCPRIM_304000_NS4lessIfEEEvPT_S5_PT0_S7_S6_S6_T1_,comdat
	.protected	_Z34thread_search_out_of_bounds_kernelIfjN7rocprim17ROCPRIM_304000_NS4lessIfEEEvPT_S5_PT0_S7_S6_S6_T1_ ; -- Begin function _Z34thread_search_out_of_bounds_kernelIfjN7rocprim17ROCPRIM_304000_NS4lessIfEEEvPT_S5_PT0_S7_S6_S6_T1_
	.globl	_Z34thread_search_out_of_bounds_kernelIfjN7rocprim17ROCPRIM_304000_NS4lessIfEEEvPT_S5_PT0_S7_S6_S6_T1_
	.p2align	8
	.type	_Z34thread_search_out_of_bounds_kernelIfjN7rocprim17ROCPRIM_304000_NS4lessIfEEEvPT_S5_PT0_S7_S6_S6_T1_,@function
_Z34thread_search_out_of_bounds_kernelIfjN7rocprim17ROCPRIM_304000_NS4lessIfEEEvPT_S5_PT0_S7_S6_S6_T1_: ; @_Z34thread_search_out_of_bounds_kernelIfjN7rocprim17ROCPRIM_304000_NS4lessIfEEEvPT_S5_PT0_S7_S6_S6_T1_
; %bb.0:
	s_clause 0x1
	s_load_b64 s[8:9], s[0:1], 0x20
	s_load_b256 s[0:7], s[0:1], 0x0
	s_waitcnt lgkmcnt(0)
	s_add_i32 s13, s9, s8
	s_delay_alu instid0(SALU_CYCLE_1) | instskip(NEXT) | instid1(SALU_CYCLE_1)
	s_add_i32 s12, s13, 1
	v_sub_nc_u32_e64 v0, s12, s9 clamp
	s_min_u32 s14, s12, s8
	s_delay_alu instid0(VALU_DEP_1) | instid1(SALU_CYCLE_1)
	v_cmp_le_u32_e32 vcc_lo, s14, v0
	v_readfirstlane_b32 s9, v0
	s_cbranch_vccnz .LBB77_3
; %bb.1:
	s_mov_b32 s11, 0
	.p2align	6
.LBB77_2:                               ; =>This Inner Loop Header: Depth=1
	s_delay_alu instid0(VALU_DEP_1) | instskip(SKIP_2) | instid1(SALU_CYCLE_1)
	s_add_i32 s10, s14, s9
	s_mov_b32 s17, s11
	s_lshr_b32 s10, s10, 1
	s_lshl_b64 s[18:19], s[10:11], 2
	s_sub_i32 s16, s13, s10
	s_add_u32 s18, s0, s18
	s_addc_u32 s19, s1, s19
	s_lshl_b64 s[16:17], s[16:17], 2
	s_load_b32 s15, s[18:19], 0x0
	s_add_u32 s16, s2, s16
	s_addc_u32 s17, s3, s17
	s_load_b32 s16, s[16:17], 0x0
	s_waitcnt lgkmcnt(0)
	v_cmp_lt_f32_e64 s15, s16, s15
	s_add_i32 s16, s10, 1
	s_delay_alu instid0(VALU_DEP_1) | instskip(SKIP_2) | instid1(SALU_CYCLE_1)
	s_and_b32 s15, s15, exec_lo
	s_cselect_b32 s14, s10, s14
	s_cselect_b32 s9, s9, s16
	s_cmp_lt_u32 s9, s14
	s_cbranch_scc1 .LBB77_2
.LBB77_3:
	s_delay_alu instid0(VALU_DEP_1)
	s_min_u32 s0, s9, s8
	s_sub_i32 s1, s12, s9
	v_dual_mov_b32 v0, 0 :: v_dual_mov_b32 v1, s0
	v_mov_b32_e32 v2, s1
	s_clause 0x1
	global_store_b32 v0, v1, s[4:5]
	global_store_b32 v0, v2, s[6:7]
	s_nop 0
	s_sendmsg sendmsg(MSG_DEALLOC_VGPRS)
	s_endpgm
	.section	.rodata,"a",@progbits
	.p2align	6, 0x0
	.amdhsa_kernel _Z34thread_search_out_of_bounds_kernelIfjN7rocprim17ROCPRIM_304000_NS4lessIfEEEvPT_S5_PT0_S7_S6_S6_T1_
		.amdhsa_group_segment_fixed_size 0
		.amdhsa_private_segment_fixed_size 0
		.amdhsa_kernarg_size 44
		.amdhsa_user_sgpr_count 15
		.amdhsa_user_sgpr_dispatch_ptr 0
		.amdhsa_user_sgpr_queue_ptr 0
		.amdhsa_user_sgpr_kernarg_segment_ptr 1
		.amdhsa_user_sgpr_dispatch_id 0
		.amdhsa_user_sgpr_private_segment_size 0
		.amdhsa_wavefront_size32 1
		.amdhsa_uses_dynamic_stack 0
		.amdhsa_enable_private_segment 0
		.amdhsa_system_sgpr_workgroup_id_x 1
		.amdhsa_system_sgpr_workgroup_id_y 0
		.amdhsa_system_sgpr_workgroup_id_z 0
		.amdhsa_system_sgpr_workgroup_info 0
		.amdhsa_system_vgpr_workitem_id 0
		.amdhsa_next_free_vgpr 3
		.amdhsa_next_free_sgpr 20
		.amdhsa_reserve_vcc 1
		.amdhsa_float_round_mode_32 0
		.amdhsa_float_round_mode_16_64 0
		.amdhsa_float_denorm_mode_32 3
		.amdhsa_float_denorm_mode_16_64 3
		.amdhsa_dx10_clamp 1
		.amdhsa_ieee_mode 1
		.amdhsa_fp16_overflow 0
		.amdhsa_workgroup_processor_mode 1
		.amdhsa_memory_ordered 1
		.amdhsa_forward_progress 0
		.amdhsa_shared_vgpr_count 0
		.amdhsa_exception_fp_ieee_invalid_op 0
		.amdhsa_exception_fp_denorm_src 0
		.amdhsa_exception_fp_ieee_div_zero 0
		.amdhsa_exception_fp_ieee_overflow 0
		.amdhsa_exception_fp_ieee_underflow 0
		.amdhsa_exception_fp_ieee_inexact 0
		.amdhsa_exception_int_div_zero 0
	.end_amdhsa_kernel
	.section	.text._Z34thread_search_out_of_bounds_kernelIfjN7rocprim17ROCPRIM_304000_NS4lessIfEEEvPT_S5_PT0_S7_S6_S6_T1_,"axG",@progbits,_Z34thread_search_out_of_bounds_kernelIfjN7rocprim17ROCPRIM_304000_NS4lessIfEEEvPT_S5_PT0_S7_S6_S6_T1_,comdat
.Lfunc_end77:
	.size	_Z34thread_search_out_of_bounds_kernelIfjN7rocprim17ROCPRIM_304000_NS4lessIfEEEvPT_S5_PT0_S7_S6_S6_T1_, .Lfunc_end77-_Z34thread_search_out_of_bounds_kernelIfjN7rocprim17ROCPRIM_304000_NS4lessIfEEEvPT_S5_PT0_S7_S6_S6_T1_
                                        ; -- End function
	.section	.AMDGPU.csdata,"",@progbits
; Kernel info:
; codeLenInByte = 224
; NumSgprs: 22
; NumVgprs: 3
; ScratchSize: 0
; MemoryBound: 0
; FloatMode: 240
; IeeeMode: 1
; LDSByteSize: 0 bytes/workgroup (compile time only)
; SGPRBlocks: 2
; VGPRBlocks: 0
; NumSGPRsForWavesPerEU: 22
; NumVGPRsForWavesPerEU: 3
; Occupancy: 16
; WaveLimiterHint : 0
; COMPUTE_PGM_RSRC2:SCRATCH_EN: 0
; COMPUTE_PGM_RSRC2:USER_SGPR: 15
; COMPUTE_PGM_RSRC2:TRAP_HANDLER: 0
; COMPUTE_PGM_RSRC2:TGID_X_EN: 1
; COMPUTE_PGM_RSRC2:TGID_Y_EN: 0
; COMPUTE_PGM_RSRC2:TGID_Z_EN: 0
; COMPUTE_PGM_RSRC2:TIDIG_COMP_CNT: 0
	.section	.text._Z20thread_search_kernelIfjN7rocprim17ROCPRIM_304000_NS7greaterIfEETnT0_Lj4EEvPT_S6_PS4_S7_S4_S4_T1_,"axG",@progbits,_Z20thread_search_kernelIfjN7rocprim17ROCPRIM_304000_NS7greaterIfEETnT0_Lj4EEvPT_S6_PS4_S7_S4_S4_T1_,comdat
	.protected	_Z20thread_search_kernelIfjN7rocprim17ROCPRIM_304000_NS7greaterIfEETnT0_Lj4EEvPT_S6_PS4_S7_S4_S4_T1_ ; -- Begin function _Z20thread_search_kernelIfjN7rocprim17ROCPRIM_304000_NS7greaterIfEETnT0_Lj4EEvPT_S6_PS4_S7_S4_S4_T1_
	.globl	_Z20thread_search_kernelIfjN7rocprim17ROCPRIM_304000_NS7greaterIfEETnT0_Lj4EEvPT_S6_PS4_S7_S4_S4_T1_
	.p2align	8
	.type	_Z20thread_search_kernelIfjN7rocprim17ROCPRIM_304000_NS7greaterIfEETnT0_Lj4EEvPT_S6_PS4_S7_S4_S4_T1_,@function
_Z20thread_search_kernelIfjN7rocprim17ROCPRIM_304000_NS7greaterIfEETnT0_Lj4EEvPT_S6_PS4_S7_S4_S4_T1_: ; @_Z20thread_search_kernelIfjN7rocprim17ROCPRIM_304000_NS7greaterIfEETnT0_Lj4EEvPT_S6_PS4_S7_S4_S4_T1_
; %bb.0:
	s_clause 0x1
	s_load_b32 s2, s[0:1], 0x3c
	s_load_b64 s[8:9], s[0:1], 0x20
	s_waitcnt lgkmcnt(0)
	s_and_b32 s2, s2, 0xffff
	s_delay_alu instid0(SALU_CYCLE_1) | instskip(SKIP_1) | instid1(VALU_DEP_1)
	v_mad_u64_u32 v[1:2], null, s15, s2, v[0:1]
	s_load_b256 s[0:7], s[0:1], 0x0
	v_lshlrev_b32_e32 v0, 2, v1
	s_delay_alu instid0(VALU_DEP_1) | instskip(SKIP_2) | instid1(VALU_DEP_1)
	v_sub_nc_u32_e64 v4, v0, s9 clamp
	v_min_u32_e32 v5, s8, v0
	s_mov_b32 s9, exec_lo
	v_cmpx_lt_u32_e64 v4, v5
	s_cbranch_execz .LBB78_4
; %bb.1:
	v_mov_b32_e32 v3, 0
	s_mov_b32 s10, 0
	.p2align	6
.LBB78_2:                               ; =>This Inner Loop Header: Depth=1
	s_delay_alu instid0(VALU_DEP_1) | instskip(NEXT) | instid1(VALU_DEP_1)
	v_dual_mov_b32 v7, v3 :: v_dual_add_nc_u32 v2, v5, v4
	v_lshrrev_b32_e32 v2, 1, v2
	s_delay_alu instid0(VALU_DEP_1) | instskip(SKIP_1) | instid1(VALU_DEP_2)
	v_xad_u32 v6, v2, -1, v0
	v_lshlrev_b64 v[8:9], 2, v[2:3]
	v_lshlrev_b64 v[6:7], 2, v[6:7]
	s_waitcnt lgkmcnt(0)
	s_delay_alu instid0(VALU_DEP_2) | instskip(NEXT) | instid1(VALU_DEP_3)
	v_add_co_u32 v8, vcc_lo, s0, v8
	v_add_co_ci_u32_e32 v9, vcc_lo, s1, v9, vcc_lo
	s_delay_alu instid0(VALU_DEP_3) | instskip(NEXT) | instid1(VALU_DEP_4)
	v_add_co_u32 v6, vcc_lo, s2, v6
	v_add_co_ci_u32_e32 v7, vcc_lo, s3, v7, vcc_lo
	global_load_b32 v8, v[8:9], off
	global_load_b32 v6, v[6:7], off
	v_add_nc_u32_e32 v7, 1, v2
	s_waitcnt vmcnt(0)
	v_cmp_gt_f32_e32 vcc_lo, v6, v8
	s_delay_alu instid0(VALU_DEP_2) | instskip(NEXT) | instid1(VALU_DEP_1)
	v_dual_cndmask_b32 v5, v5, v2 :: v_dual_cndmask_b32 v4, v7, v4
	v_cmp_ge_u32_e32 vcc_lo, v4, v5
	s_or_b32 s10, vcc_lo, s10
	s_delay_alu instid0(SALU_CYCLE_1)
	s_and_not1_b32 exec_lo, exec_lo, s10
	s_cbranch_execnz .LBB78_2
; %bb.3:
	s_or_b32 exec_lo, exec_lo, s10
.LBB78_4:
	s_delay_alu instid0(SALU_CYCLE_1) | instskip(SKIP_3) | instid1(VALU_DEP_3)
	s_or_b32 exec_lo, exec_lo, s9
	v_mov_b32_e32 v2, 0
	v_min_u32_e32 v5, s8, v4
	v_sub_nc_u32_e32 v6, v0, v4
	v_lshlrev_b64 v[1:2], 2, v[1:2]
	s_waitcnt lgkmcnt(0)
	s_delay_alu instid0(VALU_DEP_1) | instskip(NEXT) | instid1(VALU_DEP_2)
	v_add_co_u32 v3, vcc_lo, s4, v1
	v_add_co_ci_u32_e32 v4, vcc_lo, s5, v2, vcc_lo
	v_add_co_u32 v0, vcc_lo, s6, v1
	v_add_co_ci_u32_e32 v1, vcc_lo, s7, v2, vcc_lo
	global_store_b32 v[3:4], v5, off
	global_store_b32 v[0:1], v6, off
	s_nop 0
	s_sendmsg sendmsg(MSG_DEALLOC_VGPRS)
	s_endpgm
	.section	.rodata,"a",@progbits
	.p2align	6, 0x0
	.amdhsa_kernel _Z20thread_search_kernelIfjN7rocprim17ROCPRIM_304000_NS7greaterIfEETnT0_Lj4EEvPT_S6_PS4_S7_S4_S4_T1_
		.amdhsa_group_segment_fixed_size 0
		.amdhsa_private_segment_fixed_size 0
		.amdhsa_kernarg_size 304
		.amdhsa_user_sgpr_count 15
		.amdhsa_user_sgpr_dispatch_ptr 0
		.amdhsa_user_sgpr_queue_ptr 0
		.amdhsa_user_sgpr_kernarg_segment_ptr 1
		.amdhsa_user_sgpr_dispatch_id 0
		.amdhsa_user_sgpr_private_segment_size 0
		.amdhsa_wavefront_size32 1
		.amdhsa_uses_dynamic_stack 0
		.amdhsa_enable_private_segment 0
		.amdhsa_system_sgpr_workgroup_id_x 1
		.amdhsa_system_sgpr_workgroup_id_y 0
		.amdhsa_system_sgpr_workgroup_id_z 0
		.amdhsa_system_sgpr_workgroup_info 0
		.amdhsa_system_vgpr_workitem_id 0
		.amdhsa_next_free_vgpr 10
		.amdhsa_next_free_sgpr 16
		.amdhsa_reserve_vcc 1
		.amdhsa_float_round_mode_32 0
		.amdhsa_float_round_mode_16_64 0
		.amdhsa_float_denorm_mode_32 3
		.amdhsa_float_denorm_mode_16_64 3
		.amdhsa_dx10_clamp 1
		.amdhsa_ieee_mode 1
		.amdhsa_fp16_overflow 0
		.amdhsa_workgroup_processor_mode 1
		.amdhsa_memory_ordered 1
		.amdhsa_forward_progress 0
		.amdhsa_shared_vgpr_count 0
		.amdhsa_exception_fp_ieee_invalid_op 0
		.amdhsa_exception_fp_denorm_src 0
		.amdhsa_exception_fp_ieee_div_zero 0
		.amdhsa_exception_fp_ieee_overflow 0
		.amdhsa_exception_fp_ieee_underflow 0
		.amdhsa_exception_fp_ieee_inexact 0
		.amdhsa_exception_int_div_zero 0
	.end_amdhsa_kernel
	.section	.text._Z20thread_search_kernelIfjN7rocprim17ROCPRIM_304000_NS7greaterIfEETnT0_Lj4EEvPT_S6_PS4_S7_S4_S4_T1_,"axG",@progbits,_Z20thread_search_kernelIfjN7rocprim17ROCPRIM_304000_NS7greaterIfEETnT0_Lj4EEvPT_S6_PS4_S7_S4_S4_T1_,comdat
.Lfunc_end78:
	.size	_Z20thread_search_kernelIfjN7rocprim17ROCPRIM_304000_NS7greaterIfEETnT0_Lj4EEvPT_S6_PS4_S7_S4_S4_T1_, .Lfunc_end78-_Z20thread_search_kernelIfjN7rocprim17ROCPRIM_304000_NS7greaterIfEETnT0_Lj4EEvPT_S6_PS4_S7_S4_S4_T1_
                                        ; -- End function
	.section	.AMDGPU.csdata,"",@progbits
; Kernel info:
; codeLenInByte = 328
; NumSgprs: 18
; NumVgprs: 10
; ScratchSize: 0
; MemoryBound: 0
; FloatMode: 240
; IeeeMode: 1
; LDSByteSize: 0 bytes/workgroup (compile time only)
; SGPRBlocks: 2
; VGPRBlocks: 1
; NumSGPRsForWavesPerEU: 18
; NumVGPRsForWavesPerEU: 10
; Occupancy: 16
; WaveLimiterHint : 0
; COMPUTE_PGM_RSRC2:SCRATCH_EN: 0
; COMPUTE_PGM_RSRC2:USER_SGPR: 15
; COMPUTE_PGM_RSRC2:TRAP_HANDLER: 0
; COMPUTE_PGM_RSRC2:TGID_X_EN: 1
; COMPUTE_PGM_RSRC2:TGID_Y_EN: 0
; COMPUTE_PGM_RSRC2:TGID_Z_EN: 0
; COMPUTE_PGM_RSRC2:TIDIG_COMP_CNT: 0
	.section	.text._Z34thread_search_out_of_bounds_kernelIfjN7rocprim17ROCPRIM_304000_NS7greaterIfEEEvPT_S5_PT0_S7_S6_S6_T1_,"axG",@progbits,_Z34thread_search_out_of_bounds_kernelIfjN7rocprim17ROCPRIM_304000_NS7greaterIfEEEvPT_S5_PT0_S7_S6_S6_T1_,comdat
	.protected	_Z34thread_search_out_of_bounds_kernelIfjN7rocprim17ROCPRIM_304000_NS7greaterIfEEEvPT_S5_PT0_S7_S6_S6_T1_ ; -- Begin function _Z34thread_search_out_of_bounds_kernelIfjN7rocprim17ROCPRIM_304000_NS7greaterIfEEEvPT_S5_PT0_S7_S6_S6_T1_
	.globl	_Z34thread_search_out_of_bounds_kernelIfjN7rocprim17ROCPRIM_304000_NS7greaterIfEEEvPT_S5_PT0_S7_S6_S6_T1_
	.p2align	8
	.type	_Z34thread_search_out_of_bounds_kernelIfjN7rocprim17ROCPRIM_304000_NS7greaterIfEEEvPT_S5_PT0_S7_S6_S6_T1_,@function
_Z34thread_search_out_of_bounds_kernelIfjN7rocprim17ROCPRIM_304000_NS7greaterIfEEEvPT_S5_PT0_S7_S6_S6_T1_: ; @_Z34thread_search_out_of_bounds_kernelIfjN7rocprim17ROCPRIM_304000_NS7greaterIfEEEvPT_S5_PT0_S7_S6_S6_T1_
; %bb.0:
	s_clause 0x1
	s_load_b64 s[8:9], s[0:1], 0x20
	s_load_b256 s[0:7], s[0:1], 0x0
	s_waitcnt lgkmcnt(0)
	s_add_i32 s13, s9, s8
	s_delay_alu instid0(SALU_CYCLE_1) | instskip(NEXT) | instid1(SALU_CYCLE_1)
	s_add_i32 s12, s13, 1
	v_sub_nc_u32_e64 v0, s12, s9 clamp
	s_min_u32 s14, s12, s8
	s_delay_alu instid0(VALU_DEP_1) | instid1(SALU_CYCLE_1)
	v_cmp_le_u32_e32 vcc_lo, s14, v0
	v_readfirstlane_b32 s9, v0
	s_cbranch_vccnz .LBB79_3
; %bb.1:
	s_mov_b32 s11, 0
	.p2align	6
.LBB79_2:                               ; =>This Inner Loop Header: Depth=1
	s_delay_alu instid0(VALU_DEP_1) | instskip(SKIP_2) | instid1(SALU_CYCLE_1)
	s_add_i32 s10, s14, s9
	s_mov_b32 s17, s11
	s_lshr_b32 s10, s10, 1
	s_lshl_b64 s[18:19], s[10:11], 2
	s_sub_i32 s16, s13, s10
	s_add_u32 s18, s0, s18
	s_addc_u32 s19, s1, s19
	s_lshl_b64 s[16:17], s[16:17], 2
	s_load_b32 s15, s[18:19], 0x0
	s_add_u32 s16, s2, s16
	s_addc_u32 s17, s3, s17
	s_load_b32 s16, s[16:17], 0x0
	s_waitcnt lgkmcnt(0)
	v_cmp_gt_f32_e64 s15, s16, s15
	s_add_i32 s16, s10, 1
	s_delay_alu instid0(VALU_DEP_1) | instskip(SKIP_2) | instid1(SALU_CYCLE_1)
	s_and_b32 s15, s15, exec_lo
	s_cselect_b32 s14, s10, s14
	s_cselect_b32 s9, s9, s16
	s_cmp_lt_u32 s9, s14
	s_cbranch_scc1 .LBB79_2
.LBB79_3:
	s_delay_alu instid0(VALU_DEP_1)
	s_min_u32 s0, s9, s8
	s_sub_i32 s1, s12, s9
	v_dual_mov_b32 v0, 0 :: v_dual_mov_b32 v1, s0
	v_mov_b32_e32 v2, s1
	s_clause 0x1
	global_store_b32 v0, v1, s[4:5]
	global_store_b32 v0, v2, s[6:7]
	s_nop 0
	s_sendmsg sendmsg(MSG_DEALLOC_VGPRS)
	s_endpgm
	.section	.rodata,"a",@progbits
	.p2align	6, 0x0
	.amdhsa_kernel _Z34thread_search_out_of_bounds_kernelIfjN7rocprim17ROCPRIM_304000_NS7greaterIfEEEvPT_S5_PT0_S7_S6_S6_T1_
		.amdhsa_group_segment_fixed_size 0
		.amdhsa_private_segment_fixed_size 0
		.amdhsa_kernarg_size 44
		.amdhsa_user_sgpr_count 15
		.amdhsa_user_sgpr_dispatch_ptr 0
		.amdhsa_user_sgpr_queue_ptr 0
		.amdhsa_user_sgpr_kernarg_segment_ptr 1
		.amdhsa_user_sgpr_dispatch_id 0
		.amdhsa_user_sgpr_private_segment_size 0
		.amdhsa_wavefront_size32 1
		.amdhsa_uses_dynamic_stack 0
		.amdhsa_enable_private_segment 0
		.amdhsa_system_sgpr_workgroup_id_x 1
		.amdhsa_system_sgpr_workgroup_id_y 0
		.amdhsa_system_sgpr_workgroup_id_z 0
		.amdhsa_system_sgpr_workgroup_info 0
		.amdhsa_system_vgpr_workitem_id 0
		.amdhsa_next_free_vgpr 3
		.amdhsa_next_free_sgpr 20
		.amdhsa_reserve_vcc 1
		.amdhsa_float_round_mode_32 0
		.amdhsa_float_round_mode_16_64 0
		.amdhsa_float_denorm_mode_32 3
		.amdhsa_float_denorm_mode_16_64 3
		.amdhsa_dx10_clamp 1
		.amdhsa_ieee_mode 1
		.amdhsa_fp16_overflow 0
		.amdhsa_workgroup_processor_mode 1
		.amdhsa_memory_ordered 1
		.amdhsa_forward_progress 0
		.amdhsa_shared_vgpr_count 0
		.amdhsa_exception_fp_ieee_invalid_op 0
		.amdhsa_exception_fp_denorm_src 0
		.amdhsa_exception_fp_ieee_div_zero 0
		.amdhsa_exception_fp_ieee_overflow 0
		.amdhsa_exception_fp_ieee_underflow 0
		.amdhsa_exception_fp_ieee_inexact 0
		.amdhsa_exception_int_div_zero 0
	.end_amdhsa_kernel
	.section	.text._Z34thread_search_out_of_bounds_kernelIfjN7rocprim17ROCPRIM_304000_NS7greaterIfEEEvPT_S5_PT0_S7_S6_S6_T1_,"axG",@progbits,_Z34thread_search_out_of_bounds_kernelIfjN7rocprim17ROCPRIM_304000_NS7greaterIfEEEvPT_S5_PT0_S7_S6_S6_T1_,comdat
.Lfunc_end79:
	.size	_Z34thread_search_out_of_bounds_kernelIfjN7rocprim17ROCPRIM_304000_NS7greaterIfEEEvPT_S5_PT0_S7_S6_S6_T1_, .Lfunc_end79-_Z34thread_search_out_of_bounds_kernelIfjN7rocprim17ROCPRIM_304000_NS7greaterIfEEEvPT_S5_PT0_S7_S6_S6_T1_
                                        ; -- End function
	.section	.AMDGPU.csdata,"",@progbits
; Kernel info:
; codeLenInByte = 224
; NumSgprs: 22
; NumVgprs: 3
; ScratchSize: 0
; MemoryBound: 0
; FloatMode: 240
; IeeeMode: 1
; LDSByteSize: 0 bytes/workgroup (compile time only)
; SGPRBlocks: 2
; VGPRBlocks: 0
; NumSGPRsForWavesPerEU: 22
; NumVGPRsForWavesPerEU: 3
; Occupancy: 16
; WaveLimiterHint : 0
; COMPUTE_PGM_RSRC2:SCRATCH_EN: 0
; COMPUTE_PGM_RSRC2:USER_SGPR: 15
; COMPUTE_PGM_RSRC2:TRAP_HANDLER: 0
; COMPUTE_PGM_RSRC2:TGID_X_EN: 1
; COMPUTE_PGM_RSRC2:TGID_Y_EN: 0
; COMPUTE_PGM_RSRC2:TGID_Z_EN: 0
; COMPUTE_PGM_RSRC2:TIDIG_COMP_CNT: 0
	.section	.text._Z20thread_search_kernelI12hip_bfloat16jN7rocprim17ROCPRIM_304000_NS4lessIS0_EETnT0_Lj4EEvPT_S7_PS5_S8_S5_S5_T1_,"axG",@progbits,_Z20thread_search_kernelI12hip_bfloat16jN7rocprim17ROCPRIM_304000_NS4lessIS0_EETnT0_Lj4EEvPT_S7_PS5_S8_S5_S5_T1_,comdat
	.protected	_Z20thread_search_kernelI12hip_bfloat16jN7rocprim17ROCPRIM_304000_NS4lessIS0_EETnT0_Lj4EEvPT_S7_PS5_S8_S5_S5_T1_ ; -- Begin function _Z20thread_search_kernelI12hip_bfloat16jN7rocprim17ROCPRIM_304000_NS4lessIS0_EETnT0_Lj4EEvPT_S7_PS5_S8_S5_S5_T1_
	.globl	_Z20thread_search_kernelI12hip_bfloat16jN7rocprim17ROCPRIM_304000_NS4lessIS0_EETnT0_Lj4EEvPT_S7_PS5_S8_S5_S5_T1_
	.p2align	8
	.type	_Z20thread_search_kernelI12hip_bfloat16jN7rocprim17ROCPRIM_304000_NS4lessIS0_EETnT0_Lj4EEvPT_S7_PS5_S8_S5_S5_T1_,@function
_Z20thread_search_kernelI12hip_bfloat16jN7rocprim17ROCPRIM_304000_NS4lessIS0_EETnT0_Lj4EEvPT_S7_PS5_S8_S5_S5_T1_: ; @_Z20thread_search_kernelI12hip_bfloat16jN7rocprim17ROCPRIM_304000_NS4lessIS0_EETnT0_Lj4EEvPT_S7_PS5_S8_S5_S5_T1_
; %bb.0:
	s_clause 0x1
	s_load_b32 s2, s[0:1], 0x3c
	s_load_b64 s[8:9], s[0:1], 0x20
	s_waitcnt lgkmcnt(0)
	s_and_b32 s2, s2, 0xffff
	s_delay_alu instid0(SALU_CYCLE_1) | instskip(SKIP_1) | instid1(VALU_DEP_1)
	v_mad_u64_u32 v[1:2], null, s15, s2, v[0:1]
	s_load_b256 s[0:7], s[0:1], 0x0
	v_lshlrev_b32_e32 v0, 2, v1
	s_delay_alu instid0(VALU_DEP_1) | instskip(SKIP_2) | instid1(VALU_DEP_1)
	v_sub_nc_u32_e64 v4, v0, s9 clamp
	v_min_u32_e32 v5, s8, v0
	s_mov_b32 s9, exec_lo
	v_cmpx_lt_u32_e64 v4, v5
	s_cbranch_execz .LBB80_4
; %bb.1:
	v_mov_b32_e32 v3, 0
	s_mov_b32 s10, 0
	.p2align	6
.LBB80_2:                               ; =>This Inner Loop Header: Depth=1
	v_add_nc_u32_e32 v8, v5, v4
	s_delay_alu instid0(VALU_DEP_1) | instskip(NEXT) | instid1(VALU_DEP_1)
	v_lshrrev_b32_e32 v9, 1, v8
	v_xad_u32 v2, v9, -1, v0
	s_delay_alu instid0(VALU_DEP_1) | instskip(SKIP_2) | instid1(VALU_DEP_2)
	v_lshlrev_b64 v[6:7], 1, v[2:3]
	v_and_b32_e32 v2, -2, v8
	s_waitcnt lgkmcnt(0)
	v_add_co_u32 v6, vcc_lo, s2, v6
	s_delay_alu instid0(VALU_DEP_3)
	v_add_co_ci_u32_e32 v7, vcc_lo, s3, v7, vcc_lo
	global_load_u16 v2, v2, s[0:1]
	global_load_u16 v6, v[6:7], off
	v_add_nc_u32_e32 v7, 1, v9
	s_waitcnt vmcnt(1)
	v_lshlrev_b32_e32 v2, 16, v2
	s_waitcnt vmcnt(0)
	v_lshlrev_b32_e32 v6, 16, v6
	s_delay_alu instid0(VALU_DEP_1) | instskip(SKIP_1) | instid1(VALU_DEP_1)
	v_cmp_lt_f32_e32 vcc_lo, v6, v2
	v_dual_cndmask_b32 v5, v5, v9 :: v_dual_cndmask_b32 v4, v7, v4
	v_cmp_ge_u32_e32 vcc_lo, v4, v5
	s_or_b32 s10, vcc_lo, s10
	s_delay_alu instid0(SALU_CYCLE_1)
	s_and_not1_b32 exec_lo, exec_lo, s10
	s_cbranch_execnz .LBB80_2
; %bb.3:
	s_or_b32 exec_lo, exec_lo, s10
.LBB80_4:
	s_delay_alu instid0(SALU_CYCLE_1) | instskip(SKIP_3) | instid1(VALU_DEP_3)
	s_or_b32 exec_lo, exec_lo, s9
	v_mov_b32_e32 v2, 0
	v_min_u32_e32 v5, s8, v4
	v_sub_nc_u32_e32 v6, v0, v4
	v_lshlrev_b64 v[1:2], 2, v[1:2]
	s_waitcnt lgkmcnt(0)
	s_delay_alu instid0(VALU_DEP_1) | instskip(NEXT) | instid1(VALU_DEP_2)
	v_add_co_u32 v3, vcc_lo, s4, v1
	v_add_co_ci_u32_e32 v4, vcc_lo, s5, v2, vcc_lo
	v_add_co_u32 v0, vcc_lo, s6, v1
	v_add_co_ci_u32_e32 v1, vcc_lo, s7, v2, vcc_lo
	global_store_b32 v[3:4], v5, off
	global_store_b32 v[0:1], v6, off
	s_nop 0
	s_sendmsg sendmsg(MSG_DEALLOC_VGPRS)
	s_endpgm
	.section	.rodata,"a",@progbits
	.p2align	6, 0x0
	.amdhsa_kernel _Z20thread_search_kernelI12hip_bfloat16jN7rocprim17ROCPRIM_304000_NS4lessIS0_EETnT0_Lj4EEvPT_S7_PS5_S8_S5_S5_T1_
		.amdhsa_group_segment_fixed_size 0
		.amdhsa_private_segment_fixed_size 0
		.amdhsa_kernarg_size 304
		.amdhsa_user_sgpr_count 15
		.amdhsa_user_sgpr_dispatch_ptr 0
		.amdhsa_user_sgpr_queue_ptr 0
		.amdhsa_user_sgpr_kernarg_segment_ptr 1
		.amdhsa_user_sgpr_dispatch_id 0
		.amdhsa_user_sgpr_private_segment_size 0
		.amdhsa_wavefront_size32 1
		.amdhsa_uses_dynamic_stack 0
		.amdhsa_enable_private_segment 0
		.amdhsa_system_sgpr_workgroup_id_x 1
		.amdhsa_system_sgpr_workgroup_id_y 0
		.amdhsa_system_sgpr_workgroup_id_z 0
		.amdhsa_system_sgpr_workgroup_info 0
		.amdhsa_system_vgpr_workitem_id 0
		.amdhsa_next_free_vgpr 10
		.amdhsa_next_free_sgpr 16
		.amdhsa_reserve_vcc 1
		.amdhsa_float_round_mode_32 0
		.amdhsa_float_round_mode_16_64 0
		.amdhsa_float_denorm_mode_32 3
		.amdhsa_float_denorm_mode_16_64 3
		.amdhsa_dx10_clamp 1
		.amdhsa_ieee_mode 1
		.amdhsa_fp16_overflow 0
		.amdhsa_workgroup_processor_mode 1
		.amdhsa_memory_ordered 1
		.amdhsa_forward_progress 0
		.amdhsa_shared_vgpr_count 0
		.amdhsa_exception_fp_ieee_invalid_op 0
		.amdhsa_exception_fp_denorm_src 0
		.amdhsa_exception_fp_ieee_div_zero 0
		.amdhsa_exception_fp_ieee_overflow 0
		.amdhsa_exception_fp_ieee_underflow 0
		.amdhsa_exception_fp_ieee_inexact 0
		.amdhsa_exception_int_div_zero 0
	.end_amdhsa_kernel
	.section	.text._Z20thread_search_kernelI12hip_bfloat16jN7rocprim17ROCPRIM_304000_NS4lessIS0_EETnT0_Lj4EEvPT_S7_PS5_S8_S5_S5_T1_,"axG",@progbits,_Z20thread_search_kernelI12hip_bfloat16jN7rocprim17ROCPRIM_304000_NS4lessIS0_EETnT0_Lj4EEvPT_S7_PS5_S8_S5_S5_T1_,comdat
.Lfunc_end80:
	.size	_Z20thread_search_kernelI12hip_bfloat16jN7rocprim17ROCPRIM_304000_NS4lessIS0_EETnT0_Lj4EEvPT_S7_PS5_S8_S5_S5_T1_, .Lfunc_end80-_Z20thread_search_kernelI12hip_bfloat16jN7rocprim17ROCPRIM_304000_NS4lessIS0_EETnT0_Lj4EEvPT_S7_PS5_S8_S5_S5_T1_
                                        ; -- End function
	.section	.AMDGPU.csdata,"",@progbits
; Kernel info:
; codeLenInByte = 316
; NumSgprs: 18
; NumVgprs: 10
; ScratchSize: 0
; MemoryBound: 0
; FloatMode: 240
; IeeeMode: 1
; LDSByteSize: 0 bytes/workgroup (compile time only)
; SGPRBlocks: 2
; VGPRBlocks: 1
; NumSGPRsForWavesPerEU: 18
; NumVGPRsForWavesPerEU: 10
; Occupancy: 16
; WaveLimiterHint : 0
; COMPUTE_PGM_RSRC2:SCRATCH_EN: 0
; COMPUTE_PGM_RSRC2:USER_SGPR: 15
; COMPUTE_PGM_RSRC2:TRAP_HANDLER: 0
; COMPUTE_PGM_RSRC2:TGID_X_EN: 1
; COMPUTE_PGM_RSRC2:TGID_Y_EN: 0
; COMPUTE_PGM_RSRC2:TGID_Z_EN: 0
; COMPUTE_PGM_RSRC2:TIDIG_COMP_CNT: 0
	.section	.text._Z34thread_search_out_of_bounds_kernelI12hip_bfloat16jN7rocprim17ROCPRIM_304000_NS4lessIS0_EEEvPT_S6_PT0_S8_S7_S7_T1_,"axG",@progbits,_Z34thread_search_out_of_bounds_kernelI12hip_bfloat16jN7rocprim17ROCPRIM_304000_NS4lessIS0_EEEvPT_S6_PT0_S8_S7_S7_T1_,comdat
	.protected	_Z34thread_search_out_of_bounds_kernelI12hip_bfloat16jN7rocprim17ROCPRIM_304000_NS4lessIS0_EEEvPT_S6_PT0_S8_S7_S7_T1_ ; -- Begin function _Z34thread_search_out_of_bounds_kernelI12hip_bfloat16jN7rocprim17ROCPRIM_304000_NS4lessIS0_EEEvPT_S6_PT0_S8_S7_S7_T1_
	.globl	_Z34thread_search_out_of_bounds_kernelI12hip_bfloat16jN7rocprim17ROCPRIM_304000_NS4lessIS0_EEEvPT_S6_PT0_S8_S7_S7_T1_
	.p2align	8
	.type	_Z34thread_search_out_of_bounds_kernelI12hip_bfloat16jN7rocprim17ROCPRIM_304000_NS4lessIS0_EEEvPT_S6_PT0_S8_S7_S7_T1_,@function
_Z34thread_search_out_of_bounds_kernelI12hip_bfloat16jN7rocprim17ROCPRIM_304000_NS4lessIS0_EEEvPT_S6_PT0_S8_S7_S7_T1_: ; @_Z34thread_search_out_of_bounds_kernelI12hip_bfloat16jN7rocprim17ROCPRIM_304000_NS4lessIS0_EEEvPT_S6_PT0_S8_S7_S7_T1_
; %bb.0:
	s_clause 0x1
	s_load_b64 s[8:9], s[0:1], 0x20
	s_load_b256 s[0:7], s[0:1], 0x0
	s_waitcnt lgkmcnt(0)
	s_add_i32 s13, s9, s8
	s_delay_alu instid0(SALU_CYCLE_1) | instskip(NEXT) | instid1(SALU_CYCLE_1)
	s_add_i32 s12, s13, 1
	v_sub_nc_u32_e64 v0, s12, s9 clamp
	s_min_u32 s14, s12, s8
	s_delay_alu instid0(VALU_DEP_1) | instid1(SALU_CYCLE_1)
	v_cmp_le_u32_e32 vcc_lo, s14, v0
	v_readfirstlane_b32 s9, v0
	s_cbranch_vccnz .LBB81_3
; %bb.1:
	v_mov_b32_e32 v0, 0
	s_mov_b32 s11, 0
	.p2align	6
.LBB81_2:                               ; =>This Inner Loop Header: Depth=1
	s_delay_alu instid0(VALU_DEP_2) | instskip(NEXT) | instid1(SALU_CYCLE_1)
	s_add_i32 s10, s14, s9
	s_lshr_b32 s15, s10, 1
	s_and_b32 s16, s10, -2
	s_sub_i32 s10, s13, s15
	v_mov_b32_e32 v1, s16
	s_lshl_b64 s[16:17], s[10:11], 1
	s_delay_alu instid0(SALU_CYCLE_1)
	s_add_u32 s16, s2, s16
	s_addc_u32 s17, s3, s17
	global_load_u16 v1, v1, s[0:1]
	global_load_u16 v2, v0, s[16:17]
	s_add_i32 s10, s15, 1
	s_waitcnt vmcnt(1)
	v_lshlrev_b32_e32 v1, 16, v1
	s_waitcnt vmcnt(0)
	v_lshlrev_b32_e32 v2, 16, v2
	s_delay_alu instid0(VALU_DEP_1) | instskip(SKIP_3) | instid1(SALU_CYCLE_1)
	v_cmp_lt_f32_e32 vcc_lo, v2, v1
	s_and_b32 s16, vcc_lo, exec_lo
	s_cselect_b32 s14, s15, s14
	s_cselect_b32 s9, s9, s10
	s_cmp_lt_u32 s9, s14
	s_cbranch_scc1 .LBB81_2
.LBB81_3:
	s_delay_alu instid0(VALU_DEP_1)
	s_min_u32 s0, s9, s8
	s_sub_i32 s1, s12, s9
	v_dual_mov_b32 v0, 0 :: v_dual_mov_b32 v1, s0
	v_mov_b32_e32 v2, s1
	s_clause 0x1
	global_store_b32 v0, v1, s[4:5]
	global_store_b32 v0, v2, s[6:7]
	s_nop 0
	s_sendmsg sendmsg(MSG_DEALLOC_VGPRS)
	s_endpgm
	.section	.rodata,"a",@progbits
	.p2align	6, 0x0
	.amdhsa_kernel _Z34thread_search_out_of_bounds_kernelI12hip_bfloat16jN7rocprim17ROCPRIM_304000_NS4lessIS0_EEEvPT_S6_PT0_S8_S7_S7_T1_
		.amdhsa_group_segment_fixed_size 0
		.amdhsa_private_segment_fixed_size 0
		.amdhsa_kernarg_size 44
		.amdhsa_user_sgpr_count 15
		.amdhsa_user_sgpr_dispatch_ptr 0
		.amdhsa_user_sgpr_queue_ptr 0
		.amdhsa_user_sgpr_kernarg_segment_ptr 1
		.amdhsa_user_sgpr_dispatch_id 0
		.amdhsa_user_sgpr_private_segment_size 0
		.amdhsa_wavefront_size32 1
		.amdhsa_uses_dynamic_stack 0
		.amdhsa_enable_private_segment 0
		.amdhsa_system_sgpr_workgroup_id_x 1
		.amdhsa_system_sgpr_workgroup_id_y 0
		.amdhsa_system_sgpr_workgroup_id_z 0
		.amdhsa_system_sgpr_workgroup_info 0
		.amdhsa_system_vgpr_workitem_id 0
		.amdhsa_next_free_vgpr 3
		.amdhsa_next_free_sgpr 18
		.amdhsa_reserve_vcc 1
		.amdhsa_float_round_mode_32 0
		.amdhsa_float_round_mode_16_64 0
		.amdhsa_float_denorm_mode_32 3
		.amdhsa_float_denorm_mode_16_64 3
		.amdhsa_dx10_clamp 1
		.amdhsa_ieee_mode 1
		.amdhsa_fp16_overflow 0
		.amdhsa_workgroup_processor_mode 1
		.amdhsa_memory_ordered 1
		.amdhsa_forward_progress 0
		.amdhsa_shared_vgpr_count 0
		.amdhsa_exception_fp_ieee_invalid_op 0
		.amdhsa_exception_fp_denorm_src 0
		.amdhsa_exception_fp_ieee_div_zero 0
		.amdhsa_exception_fp_ieee_overflow 0
		.amdhsa_exception_fp_ieee_underflow 0
		.amdhsa_exception_fp_ieee_inexact 0
		.amdhsa_exception_int_div_zero 0
	.end_amdhsa_kernel
	.section	.text._Z34thread_search_out_of_bounds_kernelI12hip_bfloat16jN7rocprim17ROCPRIM_304000_NS4lessIS0_EEEvPT_S6_PT0_S8_S7_S7_T1_,"axG",@progbits,_Z34thread_search_out_of_bounds_kernelI12hip_bfloat16jN7rocprim17ROCPRIM_304000_NS4lessIS0_EEEvPT_S6_PT0_S8_S7_S7_T1_,comdat
.Lfunc_end81:
	.size	_Z34thread_search_out_of_bounds_kernelI12hip_bfloat16jN7rocprim17ROCPRIM_304000_NS4lessIS0_EEEvPT_S6_PT0_S8_S7_S7_T1_, .Lfunc_end81-_Z34thread_search_out_of_bounds_kernelI12hip_bfloat16jN7rocprim17ROCPRIM_304000_NS4lessIS0_EEEvPT_S6_PT0_S8_S7_S7_T1_
                                        ; -- End function
	.section	.AMDGPU.csdata,"",@progbits
; Kernel info:
; codeLenInByte = 232
; NumSgprs: 20
; NumVgprs: 3
; ScratchSize: 0
; MemoryBound: 0
; FloatMode: 240
; IeeeMode: 1
; LDSByteSize: 0 bytes/workgroup (compile time only)
; SGPRBlocks: 2
; VGPRBlocks: 0
; NumSGPRsForWavesPerEU: 20
; NumVGPRsForWavesPerEU: 3
; Occupancy: 16
; WaveLimiterHint : 0
; COMPUTE_PGM_RSRC2:SCRATCH_EN: 0
; COMPUTE_PGM_RSRC2:USER_SGPR: 15
; COMPUTE_PGM_RSRC2:TRAP_HANDLER: 0
; COMPUTE_PGM_RSRC2:TGID_X_EN: 1
; COMPUTE_PGM_RSRC2:TGID_Y_EN: 0
; COMPUTE_PGM_RSRC2:TGID_Z_EN: 0
; COMPUTE_PGM_RSRC2:TIDIG_COMP_CNT: 0
	.section	.text._Z20thread_search_kernelI12hip_bfloat16jN7rocprim17ROCPRIM_304000_NS7greaterIS0_EETnT0_Lj4EEvPT_S7_PS5_S8_S5_S5_T1_,"axG",@progbits,_Z20thread_search_kernelI12hip_bfloat16jN7rocprim17ROCPRIM_304000_NS7greaterIS0_EETnT0_Lj4EEvPT_S7_PS5_S8_S5_S5_T1_,comdat
	.protected	_Z20thread_search_kernelI12hip_bfloat16jN7rocprim17ROCPRIM_304000_NS7greaterIS0_EETnT0_Lj4EEvPT_S7_PS5_S8_S5_S5_T1_ ; -- Begin function _Z20thread_search_kernelI12hip_bfloat16jN7rocprim17ROCPRIM_304000_NS7greaterIS0_EETnT0_Lj4EEvPT_S7_PS5_S8_S5_S5_T1_
	.globl	_Z20thread_search_kernelI12hip_bfloat16jN7rocprim17ROCPRIM_304000_NS7greaterIS0_EETnT0_Lj4EEvPT_S7_PS5_S8_S5_S5_T1_
	.p2align	8
	.type	_Z20thread_search_kernelI12hip_bfloat16jN7rocprim17ROCPRIM_304000_NS7greaterIS0_EETnT0_Lj4EEvPT_S7_PS5_S8_S5_S5_T1_,@function
_Z20thread_search_kernelI12hip_bfloat16jN7rocprim17ROCPRIM_304000_NS7greaterIS0_EETnT0_Lj4EEvPT_S7_PS5_S8_S5_S5_T1_: ; @_Z20thread_search_kernelI12hip_bfloat16jN7rocprim17ROCPRIM_304000_NS7greaterIS0_EETnT0_Lj4EEvPT_S7_PS5_S8_S5_S5_T1_
; %bb.0:
	s_clause 0x1
	s_load_b32 s2, s[0:1], 0x3c
	s_load_b64 s[8:9], s[0:1], 0x20
	s_waitcnt lgkmcnt(0)
	s_and_b32 s2, s2, 0xffff
	s_delay_alu instid0(SALU_CYCLE_1) | instskip(SKIP_1) | instid1(VALU_DEP_1)
	v_mad_u64_u32 v[1:2], null, s15, s2, v[0:1]
	s_load_b256 s[0:7], s[0:1], 0x0
	v_lshlrev_b32_e32 v0, 2, v1
	s_delay_alu instid0(VALU_DEP_1) | instskip(SKIP_2) | instid1(VALU_DEP_1)
	v_sub_nc_u32_e64 v4, v0, s9 clamp
	v_min_u32_e32 v5, s8, v0
	s_mov_b32 s9, exec_lo
	v_cmpx_lt_u32_e64 v4, v5
	s_cbranch_execz .LBB82_4
; %bb.1:
	v_mov_b32_e32 v3, 0
	s_mov_b32 s10, 0
	.p2align	6
.LBB82_2:                               ; =>This Inner Loop Header: Depth=1
	v_add_nc_u32_e32 v8, v5, v4
	s_delay_alu instid0(VALU_DEP_1) | instskip(NEXT) | instid1(VALU_DEP_1)
	v_lshrrev_b32_e32 v9, 1, v8
	v_xad_u32 v2, v9, -1, v0
	s_delay_alu instid0(VALU_DEP_1) | instskip(SKIP_2) | instid1(VALU_DEP_2)
	v_lshlrev_b64 v[6:7], 1, v[2:3]
	v_and_b32_e32 v2, -2, v8
	s_waitcnt lgkmcnt(0)
	v_add_co_u32 v6, vcc_lo, s2, v6
	s_delay_alu instid0(VALU_DEP_3)
	v_add_co_ci_u32_e32 v7, vcc_lo, s3, v7, vcc_lo
	global_load_u16 v2, v2, s[0:1]
	global_load_u16 v6, v[6:7], off
	v_add_nc_u32_e32 v7, 1, v9
	s_waitcnt vmcnt(1)
	v_lshlrev_b32_e32 v2, 16, v2
	s_waitcnt vmcnt(0)
	v_lshlrev_b32_e32 v6, 16, v6
	s_delay_alu instid0(VALU_DEP_1) | instskip(SKIP_1) | instid1(VALU_DEP_1)
	v_cmp_lt_f32_e32 vcc_lo, v2, v6
	v_dual_cndmask_b32 v5, v5, v9 :: v_dual_cndmask_b32 v4, v7, v4
	v_cmp_ge_u32_e32 vcc_lo, v4, v5
	s_or_b32 s10, vcc_lo, s10
	s_delay_alu instid0(SALU_CYCLE_1)
	s_and_not1_b32 exec_lo, exec_lo, s10
	s_cbranch_execnz .LBB82_2
; %bb.3:
	s_or_b32 exec_lo, exec_lo, s10
.LBB82_4:
	s_delay_alu instid0(SALU_CYCLE_1) | instskip(SKIP_3) | instid1(VALU_DEP_3)
	s_or_b32 exec_lo, exec_lo, s9
	v_mov_b32_e32 v2, 0
	v_min_u32_e32 v5, s8, v4
	v_sub_nc_u32_e32 v6, v0, v4
	v_lshlrev_b64 v[1:2], 2, v[1:2]
	s_waitcnt lgkmcnt(0)
	s_delay_alu instid0(VALU_DEP_1) | instskip(NEXT) | instid1(VALU_DEP_2)
	v_add_co_u32 v3, vcc_lo, s4, v1
	v_add_co_ci_u32_e32 v4, vcc_lo, s5, v2, vcc_lo
	v_add_co_u32 v0, vcc_lo, s6, v1
	v_add_co_ci_u32_e32 v1, vcc_lo, s7, v2, vcc_lo
	global_store_b32 v[3:4], v5, off
	global_store_b32 v[0:1], v6, off
	s_nop 0
	s_sendmsg sendmsg(MSG_DEALLOC_VGPRS)
	s_endpgm
	.section	.rodata,"a",@progbits
	.p2align	6, 0x0
	.amdhsa_kernel _Z20thread_search_kernelI12hip_bfloat16jN7rocprim17ROCPRIM_304000_NS7greaterIS0_EETnT0_Lj4EEvPT_S7_PS5_S8_S5_S5_T1_
		.amdhsa_group_segment_fixed_size 0
		.amdhsa_private_segment_fixed_size 0
		.amdhsa_kernarg_size 304
		.amdhsa_user_sgpr_count 15
		.amdhsa_user_sgpr_dispatch_ptr 0
		.amdhsa_user_sgpr_queue_ptr 0
		.amdhsa_user_sgpr_kernarg_segment_ptr 1
		.amdhsa_user_sgpr_dispatch_id 0
		.amdhsa_user_sgpr_private_segment_size 0
		.amdhsa_wavefront_size32 1
		.amdhsa_uses_dynamic_stack 0
		.amdhsa_enable_private_segment 0
		.amdhsa_system_sgpr_workgroup_id_x 1
		.amdhsa_system_sgpr_workgroup_id_y 0
		.amdhsa_system_sgpr_workgroup_id_z 0
		.amdhsa_system_sgpr_workgroup_info 0
		.amdhsa_system_vgpr_workitem_id 0
		.amdhsa_next_free_vgpr 10
		.amdhsa_next_free_sgpr 16
		.amdhsa_reserve_vcc 1
		.amdhsa_float_round_mode_32 0
		.amdhsa_float_round_mode_16_64 0
		.amdhsa_float_denorm_mode_32 3
		.amdhsa_float_denorm_mode_16_64 3
		.amdhsa_dx10_clamp 1
		.amdhsa_ieee_mode 1
		.amdhsa_fp16_overflow 0
		.amdhsa_workgroup_processor_mode 1
		.amdhsa_memory_ordered 1
		.amdhsa_forward_progress 0
		.amdhsa_shared_vgpr_count 0
		.amdhsa_exception_fp_ieee_invalid_op 0
		.amdhsa_exception_fp_denorm_src 0
		.amdhsa_exception_fp_ieee_div_zero 0
		.amdhsa_exception_fp_ieee_overflow 0
		.amdhsa_exception_fp_ieee_underflow 0
		.amdhsa_exception_fp_ieee_inexact 0
		.amdhsa_exception_int_div_zero 0
	.end_amdhsa_kernel
	.section	.text._Z20thread_search_kernelI12hip_bfloat16jN7rocprim17ROCPRIM_304000_NS7greaterIS0_EETnT0_Lj4EEvPT_S7_PS5_S8_S5_S5_T1_,"axG",@progbits,_Z20thread_search_kernelI12hip_bfloat16jN7rocprim17ROCPRIM_304000_NS7greaterIS0_EETnT0_Lj4EEvPT_S7_PS5_S8_S5_S5_T1_,comdat
.Lfunc_end82:
	.size	_Z20thread_search_kernelI12hip_bfloat16jN7rocprim17ROCPRIM_304000_NS7greaterIS0_EETnT0_Lj4EEvPT_S7_PS5_S8_S5_S5_T1_, .Lfunc_end82-_Z20thread_search_kernelI12hip_bfloat16jN7rocprim17ROCPRIM_304000_NS7greaterIS0_EETnT0_Lj4EEvPT_S7_PS5_S8_S5_S5_T1_
                                        ; -- End function
	.section	.AMDGPU.csdata,"",@progbits
; Kernel info:
; codeLenInByte = 316
; NumSgprs: 18
; NumVgprs: 10
; ScratchSize: 0
; MemoryBound: 0
; FloatMode: 240
; IeeeMode: 1
; LDSByteSize: 0 bytes/workgroup (compile time only)
; SGPRBlocks: 2
; VGPRBlocks: 1
; NumSGPRsForWavesPerEU: 18
; NumVGPRsForWavesPerEU: 10
; Occupancy: 16
; WaveLimiterHint : 0
; COMPUTE_PGM_RSRC2:SCRATCH_EN: 0
; COMPUTE_PGM_RSRC2:USER_SGPR: 15
; COMPUTE_PGM_RSRC2:TRAP_HANDLER: 0
; COMPUTE_PGM_RSRC2:TGID_X_EN: 1
; COMPUTE_PGM_RSRC2:TGID_Y_EN: 0
; COMPUTE_PGM_RSRC2:TGID_Z_EN: 0
; COMPUTE_PGM_RSRC2:TIDIG_COMP_CNT: 0
	.section	.text._Z34thread_search_out_of_bounds_kernelI12hip_bfloat16jN7rocprim17ROCPRIM_304000_NS7greaterIS0_EEEvPT_S6_PT0_S8_S7_S7_T1_,"axG",@progbits,_Z34thread_search_out_of_bounds_kernelI12hip_bfloat16jN7rocprim17ROCPRIM_304000_NS7greaterIS0_EEEvPT_S6_PT0_S8_S7_S7_T1_,comdat
	.protected	_Z34thread_search_out_of_bounds_kernelI12hip_bfloat16jN7rocprim17ROCPRIM_304000_NS7greaterIS0_EEEvPT_S6_PT0_S8_S7_S7_T1_ ; -- Begin function _Z34thread_search_out_of_bounds_kernelI12hip_bfloat16jN7rocprim17ROCPRIM_304000_NS7greaterIS0_EEEvPT_S6_PT0_S8_S7_S7_T1_
	.globl	_Z34thread_search_out_of_bounds_kernelI12hip_bfloat16jN7rocprim17ROCPRIM_304000_NS7greaterIS0_EEEvPT_S6_PT0_S8_S7_S7_T1_
	.p2align	8
	.type	_Z34thread_search_out_of_bounds_kernelI12hip_bfloat16jN7rocprim17ROCPRIM_304000_NS7greaterIS0_EEEvPT_S6_PT0_S8_S7_S7_T1_,@function
_Z34thread_search_out_of_bounds_kernelI12hip_bfloat16jN7rocprim17ROCPRIM_304000_NS7greaterIS0_EEEvPT_S6_PT0_S8_S7_S7_T1_: ; @_Z34thread_search_out_of_bounds_kernelI12hip_bfloat16jN7rocprim17ROCPRIM_304000_NS7greaterIS0_EEEvPT_S6_PT0_S8_S7_S7_T1_
; %bb.0:
	s_clause 0x1
	s_load_b64 s[8:9], s[0:1], 0x20
	s_load_b256 s[0:7], s[0:1], 0x0
	s_waitcnt lgkmcnt(0)
	s_add_i32 s13, s9, s8
	s_delay_alu instid0(SALU_CYCLE_1) | instskip(NEXT) | instid1(SALU_CYCLE_1)
	s_add_i32 s12, s13, 1
	v_sub_nc_u32_e64 v0, s12, s9 clamp
	s_min_u32 s14, s12, s8
	s_delay_alu instid0(VALU_DEP_1) | instid1(SALU_CYCLE_1)
	v_cmp_le_u32_e32 vcc_lo, s14, v0
	v_readfirstlane_b32 s9, v0
	s_cbranch_vccnz .LBB83_3
; %bb.1:
	v_mov_b32_e32 v0, 0
	s_mov_b32 s11, 0
	.p2align	6
.LBB83_2:                               ; =>This Inner Loop Header: Depth=1
	s_delay_alu instid0(VALU_DEP_2) | instskip(NEXT) | instid1(SALU_CYCLE_1)
	s_add_i32 s10, s14, s9
	s_lshr_b32 s15, s10, 1
	s_and_b32 s16, s10, -2
	s_sub_i32 s10, s13, s15
	v_mov_b32_e32 v1, s16
	s_lshl_b64 s[16:17], s[10:11], 1
	s_delay_alu instid0(SALU_CYCLE_1)
	s_add_u32 s16, s2, s16
	s_addc_u32 s17, s3, s17
	global_load_u16 v1, v1, s[0:1]
	global_load_u16 v2, v0, s[16:17]
	s_add_i32 s10, s15, 1
	s_waitcnt vmcnt(1)
	v_lshlrev_b32_e32 v1, 16, v1
	s_waitcnt vmcnt(0)
	v_lshlrev_b32_e32 v2, 16, v2
	s_delay_alu instid0(VALU_DEP_1) | instskip(SKIP_3) | instid1(SALU_CYCLE_1)
	v_cmp_lt_f32_e32 vcc_lo, v1, v2
	s_and_b32 s16, vcc_lo, exec_lo
	s_cselect_b32 s14, s15, s14
	s_cselect_b32 s9, s9, s10
	s_cmp_lt_u32 s9, s14
	s_cbranch_scc1 .LBB83_2
.LBB83_3:
	s_delay_alu instid0(VALU_DEP_1)
	s_min_u32 s0, s9, s8
	s_sub_i32 s1, s12, s9
	v_dual_mov_b32 v0, 0 :: v_dual_mov_b32 v1, s0
	v_mov_b32_e32 v2, s1
	s_clause 0x1
	global_store_b32 v0, v1, s[4:5]
	global_store_b32 v0, v2, s[6:7]
	s_nop 0
	s_sendmsg sendmsg(MSG_DEALLOC_VGPRS)
	s_endpgm
	.section	.rodata,"a",@progbits
	.p2align	6, 0x0
	.amdhsa_kernel _Z34thread_search_out_of_bounds_kernelI12hip_bfloat16jN7rocprim17ROCPRIM_304000_NS7greaterIS0_EEEvPT_S6_PT0_S8_S7_S7_T1_
		.amdhsa_group_segment_fixed_size 0
		.amdhsa_private_segment_fixed_size 0
		.amdhsa_kernarg_size 44
		.amdhsa_user_sgpr_count 15
		.amdhsa_user_sgpr_dispatch_ptr 0
		.amdhsa_user_sgpr_queue_ptr 0
		.amdhsa_user_sgpr_kernarg_segment_ptr 1
		.amdhsa_user_sgpr_dispatch_id 0
		.amdhsa_user_sgpr_private_segment_size 0
		.amdhsa_wavefront_size32 1
		.amdhsa_uses_dynamic_stack 0
		.amdhsa_enable_private_segment 0
		.amdhsa_system_sgpr_workgroup_id_x 1
		.amdhsa_system_sgpr_workgroup_id_y 0
		.amdhsa_system_sgpr_workgroup_id_z 0
		.amdhsa_system_sgpr_workgroup_info 0
		.amdhsa_system_vgpr_workitem_id 0
		.amdhsa_next_free_vgpr 3
		.amdhsa_next_free_sgpr 18
		.amdhsa_reserve_vcc 1
		.amdhsa_float_round_mode_32 0
		.amdhsa_float_round_mode_16_64 0
		.amdhsa_float_denorm_mode_32 3
		.amdhsa_float_denorm_mode_16_64 3
		.amdhsa_dx10_clamp 1
		.amdhsa_ieee_mode 1
		.amdhsa_fp16_overflow 0
		.amdhsa_workgroup_processor_mode 1
		.amdhsa_memory_ordered 1
		.amdhsa_forward_progress 0
		.amdhsa_shared_vgpr_count 0
		.amdhsa_exception_fp_ieee_invalid_op 0
		.amdhsa_exception_fp_denorm_src 0
		.amdhsa_exception_fp_ieee_div_zero 0
		.amdhsa_exception_fp_ieee_overflow 0
		.amdhsa_exception_fp_ieee_underflow 0
		.amdhsa_exception_fp_ieee_inexact 0
		.amdhsa_exception_int_div_zero 0
	.end_amdhsa_kernel
	.section	.text._Z34thread_search_out_of_bounds_kernelI12hip_bfloat16jN7rocprim17ROCPRIM_304000_NS7greaterIS0_EEEvPT_S6_PT0_S8_S7_S7_T1_,"axG",@progbits,_Z34thread_search_out_of_bounds_kernelI12hip_bfloat16jN7rocprim17ROCPRIM_304000_NS7greaterIS0_EEEvPT_S6_PT0_S8_S7_S7_T1_,comdat
.Lfunc_end83:
	.size	_Z34thread_search_out_of_bounds_kernelI12hip_bfloat16jN7rocprim17ROCPRIM_304000_NS7greaterIS0_EEEvPT_S6_PT0_S8_S7_S7_T1_, .Lfunc_end83-_Z34thread_search_out_of_bounds_kernelI12hip_bfloat16jN7rocprim17ROCPRIM_304000_NS7greaterIS0_EEEvPT_S6_PT0_S8_S7_S7_T1_
                                        ; -- End function
	.section	.AMDGPU.csdata,"",@progbits
; Kernel info:
; codeLenInByte = 232
; NumSgprs: 20
; NumVgprs: 3
; ScratchSize: 0
; MemoryBound: 0
; FloatMode: 240
; IeeeMode: 1
; LDSByteSize: 0 bytes/workgroup (compile time only)
; SGPRBlocks: 2
; VGPRBlocks: 0
; NumSGPRsForWavesPerEU: 20
; NumVGPRsForWavesPerEU: 3
; Occupancy: 16
; WaveLimiterHint : 0
; COMPUTE_PGM_RSRC2:SCRATCH_EN: 0
; COMPUTE_PGM_RSRC2:USER_SGPR: 15
; COMPUTE_PGM_RSRC2:TRAP_HANDLER: 0
; COMPUTE_PGM_RSRC2:TGID_X_EN: 1
; COMPUTE_PGM_RSRC2:TGID_Y_EN: 0
; COMPUTE_PGM_RSRC2:TGID_Z_EN: 0
; COMPUTE_PGM_RSRC2:TIDIG_COMP_CNT: 0
	.section	.text._Z20thread_search_kernelI6__halfjN7rocprim17ROCPRIM_304000_NS4lessIS0_EETnT0_Lj4EEvPT_S7_PS5_S8_S5_S5_T1_,"axG",@progbits,_Z20thread_search_kernelI6__halfjN7rocprim17ROCPRIM_304000_NS4lessIS0_EETnT0_Lj4EEvPT_S7_PS5_S8_S5_S5_T1_,comdat
	.protected	_Z20thread_search_kernelI6__halfjN7rocprim17ROCPRIM_304000_NS4lessIS0_EETnT0_Lj4EEvPT_S7_PS5_S8_S5_S5_T1_ ; -- Begin function _Z20thread_search_kernelI6__halfjN7rocprim17ROCPRIM_304000_NS4lessIS0_EETnT0_Lj4EEvPT_S7_PS5_S8_S5_S5_T1_
	.globl	_Z20thread_search_kernelI6__halfjN7rocprim17ROCPRIM_304000_NS4lessIS0_EETnT0_Lj4EEvPT_S7_PS5_S8_S5_S5_T1_
	.p2align	8
	.type	_Z20thread_search_kernelI6__halfjN7rocprim17ROCPRIM_304000_NS4lessIS0_EETnT0_Lj4EEvPT_S7_PS5_S8_S5_S5_T1_,@function
_Z20thread_search_kernelI6__halfjN7rocprim17ROCPRIM_304000_NS4lessIS0_EETnT0_Lj4EEvPT_S7_PS5_S8_S5_S5_T1_: ; @_Z20thread_search_kernelI6__halfjN7rocprim17ROCPRIM_304000_NS4lessIS0_EETnT0_Lj4EEvPT_S7_PS5_S8_S5_S5_T1_
; %bb.0:
	s_clause 0x1
	s_load_b32 s2, s[0:1], 0x3c
	s_load_b64 s[8:9], s[0:1], 0x20
	s_waitcnt lgkmcnt(0)
	s_and_b32 s2, s2, 0xffff
	s_delay_alu instid0(SALU_CYCLE_1) | instskip(SKIP_1) | instid1(VALU_DEP_1)
	v_mad_u64_u32 v[1:2], null, s15, s2, v[0:1]
	s_load_b256 s[0:7], s[0:1], 0x0
	v_lshlrev_b32_e32 v0, 2, v1
	s_delay_alu instid0(VALU_DEP_1) | instskip(SKIP_2) | instid1(VALU_DEP_1)
	v_sub_nc_u32_e64 v4, v0, s9 clamp
	v_min_u32_e32 v5, s8, v0
	s_mov_b32 s9, exec_lo
	v_cmpx_lt_u32_e64 v4, v5
	s_cbranch_execz .LBB84_4
; %bb.1:
	v_mov_b32_e32 v3, 0
	s_mov_b32 s10, 0
	.p2align	6
.LBB84_2:                               ; =>This Inner Loop Header: Depth=1
	v_add_nc_u32_e32 v8, v5, v4
	s_delay_alu instid0(VALU_DEP_1) | instskip(NEXT) | instid1(VALU_DEP_1)
	v_lshrrev_b32_e32 v9, 1, v8
	v_xad_u32 v2, v9, -1, v0
	s_delay_alu instid0(VALU_DEP_1) | instskip(SKIP_2) | instid1(VALU_DEP_2)
	v_lshlrev_b64 v[6:7], 1, v[2:3]
	v_and_b32_e32 v2, -2, v8
	s_waitcnt lgkmcnt(0)
	v_add_co_u32 v6, vcc_lo, s2, v6
	s_delay_alu instid0(VALU_DEP_3)
	v_add_co_ci_u32_e32 v7, vcc_lo, s3, v7, vcc_lo
	global_load_u16 v2, v2, s[0:1]
	global_load_u16 v6, v[6:7], off
	v_add_nc_u32_e32 v7, 1, v9
	s_waitcnt vmcnt(0)
	v_cmp_lt_f16_e32 vcc_lo, v6, v2
	s_delay_alu instid0(VALU_DEP_2) | instskip(NEXT) | instid1(VALU_DEP_1)
	v_dual_cndmask_b32 v5, v5, v9 :: v_dual_cndmask_b32 v4, v7, v4
	v_cmp_ge_u32_e32 vcc_lo, v4, v5
	s_or_b32 s10, vcc_lo, s10
	s_delay_alu instid0(SALU_CYCLE_1)
	s_and_not1_b32 exec_lo, exec_lo, s10
	s_cbranch_execnz .LBB84_2
; %bb.3:
	s_or_b32 exec_lo, exec_lo, s10
.LBB84_4:
	s_delay_alu instid0(SALU_CYCLE_1) | instskip(SKIP_3) | instid1(VALU_DEP_3)
	s_or_b32 exec_lo, exec_lo, s9
	v_mov_b32_e32 v2, 0
	v_min_u32_e32 v5, s8, v4
	v_sub_nc_u32_e32 v6, v0, v4
	v_lshlrev_b64 v[1:2], 2, v[1:2]
	s_waitcnt lgkmcnt(0)
	s_delay_alu instid0(VALU_DEP_1) | instskip(NEXT) | instid1(VALU_DEP_2)
	v_add_co_u32 v3, vcc_lo, s4, v1
	v_add_co_ci_u32_e32 v4, vcc_lo, s5, v2, vcc_lo
	v_add_co_u32 v0, vcc_lo, s6, v1
	v_add_co_ci_u32_e32 v1, vcc_lo, s7, v2, vcc_lo
	global_store_b32 v[3:4], v5, off
	global_store_b32 v[0:1], v6, off
	s_nop 0
	s_sendmsg sendmsg(MSG_DEALLOC_VGPRS)
	s_endpgm
	.section	.rodata,"a",@progbits
	.p2align	6, 0x0
	.amdhsa_kernel _Z20thread_search_kernelI6__halfjN7rocprim17ROCPRIM_304000_NS4lessIS0_EETnT0_Lj4EEvPT_S7_PS5_S8_S5_S5_T1_
		.amdhsa_group_segment_fixed_size 0
		.amdhsa_private_segment_fixed_size 0
		.amdhsa_kernarg_size 304
		.amdhsa_user_sgpr_count 15
		.amdhsa_user_sgpr_dispatch_ptr 0
		.amdhsa_user_sgpr_queue_ptr 0
		.amdhsa_user_sgpr_kernarg_segment_ptr 1
		.amdhsa_user_sgpr_dispatch_id 0
		.amdhsa_user_sgpr_private_segment_size 0
		.amdhsa_wavefront_size32 1
		.amdhsa_uses_dynamic_stack 0
		.amdhsa_enable_private_segment 0
		.amdhsa_system_sgpr_workgroup_id_x 1
		.amdhsa_system_sgpr_workgroup_id_y 0
		.amdhsa_system_sgpr_workgroup_id_z 0
		.amdhsa_system_sgpr_workgroup_info 0
		.amdhsa_system_vgpr_workitem_id 0
		.amdhsa_next_free_vgpr 10
		.amdhsa_next_free_sgpr 16
		.amdhsa_reserve_vcc 1
		.amdhsa_float_round_mode_32 0
		.amdhsa_float_round_mode_16_64 0
		.amdhsa_float_denorm_mode_32 3
		.amdhsa_float_denorm_mode_16_64 3
		.amdhsa_dx10_clamp 1
		.amdhsa_ieee_mode 1
		.amdhsa_fp16_overflow 0
		.amdhsa_workgroup_processor_mode 1
		.amdhsa_memory_ordered 1
		.amdhsa_forward_progress 0
		.amdhsa_shared_vgpr_count 0
		.amdhsa_exception_fp_ieee_invalid_op 0
		.amdhsa_exception_fp_denorm_src 0
		.amdhsa_exception_fp_ieee_div_zero 0
		.amdhsa_exception_fp_ieee_overflow 0
		.amdhsa_exception_fp_ieee_underflow 0
		.amdhsa_exception_fp_ieee_inexact 0
		.amdhsa_exception_int_div_zero 0
	.end_amdhsa_kernel
	.section	.text._Z20thread_search_kernelI6__halfjN7rocprim17ROCPRIM_304000_NS4lessIS0_EETnT0_Lj4EEvPT_S7_PS5_S8_S5_S5_T1_,"axG",@progbits,_Z20thread_search_kernelI6__halfjN7rocprim17ROCPRIM_304000_NS4lessIS0_EETnT0_Lj4EEvPT_S7_PS5_S8_S5_S5_T1_,comdat
.Lfunc_end84:
	.size	_Z20thread_search_kernelI6__halfjN7rocprim17ROCPRIM_304000_NS4lessIS0_EETnT0_Lj4EEvPT_S7_PS5_S8_S5_S5_T1_, .Lfunc_end84-_Z20thread_search_kernelI6__halfjN7rocprim17ROCPRIM_304000_NS4lessIS0_EETnT0_Lj4EEvPT_S7_PS5_S8_S5_S5_T1_
                                        ; -- End function
	.section	.AMDGPU.csdata,"",@progbits
; Kernel info:
; codeLenInByte = 304
; NumSgprs: 18
; NumVgprs: 10
; ScratchSize: 0
; MemoryBound: 0
; FloatMode: 240
; IeeeMode: 1
; LDSByteSize: 0 bytes/workgroup (compile time only)
; SGPRBlocks: 2
; VGPRBlocks: 1
; NumSGPRsForWavesPerEU: 18
; NumVGPRsForWavesPerEU: 10
; Occupancy: 16
; WaveLimiterHint : 0
; COMPUTE_PGM_RSRC2:SCRATCH_EN: 0
; COMPUTE_PGM_RSRC2:USER_SGPR: 15
; COMPUTE_PGM_RSRC2:TRAP_HANDLER: 0
; COMPUTE_PGM_RSRC2:TGID_X_EN: 1
; COMPUTE_PGM_RSRC2:TGID_Y_EN: 0
; COMPUTE_PGM_RSRC2:TGID_Z_EN: 0
; COMPUTE_PGM_RSRC2:TIDIG_COMP_CNT: 0
	.section	.text._Z34thread_search_out_of_bounds_kernelI6__halfjN7rocprim17ROCPRIM_304000_NS4lessIS0_EEEvPT_S6_PT0_S8_S7_S7_T1_,"axG",@progbits,_Z34thread_search_out_of_bounds_kernelI6__halfjN7rocprim17ROCPRIM_304000_NS4lessIS0_EEEvPT_S6_PT0_S8_S7_S7_T1_,comdat
	.protected	_Z34thread_search_out_of_bounds_kernelI6__halfjN7rocprim17ROCPRIM_304000_NS4lessIS0_EEEvPT_S6_PT0_S8_S7_S7_T1_ ; -- Begin function _Z34thread_search_out_of_bounds_kernelI6__halfjN7rocprim17ROCPRIM_304000_NS4lessIS0_EEEvPT_S6_PT0_S8_S7_S7_T1_
	.globl	_Z34thread_search_out_of_bounds_kernelI6__halfjN7rocprim17ROCPRIM_304000_NS4lessIS0_EEEvPT_S6_PT0_S8_S7_S7_T1_
	.p2align	8
	.type	_Z34thread_search_out_of_bounds_kernelI6__halfjN7rocprim17ROCPRIM_304000_NS4lessIS0_EEEvPT_S6_PT0_S8_S7_S7_T1_,@function
_Z34thread_search_out_of_bounds_kernelI6__halfjN7rocprim17ROCPRIM_304000_NS4lessIS0_EEEvPT_S6_PT0_S8_S7_S7_T1_: ; @_Z34thread_search_out_of_bounds_kernelI6__halfjN7rocprim17ROCPRIM_304000_NS4lessIS0_EEEvPT_S6_PT0_S8_S7_S7_T1_
; %bb.0:
	s_clause 0x1
	s_load_b64 s[8:9], s[0:1], 0x20
	s_load_b256 s[0:7], s[0:1], 0x0
	s_waitcnt lgkmcnt(0)
	s_add_i32 s13, s9, s8
	s_delay_alu instid0(SALU_CYCLE_1) | instskip(NEXT) | instid1(SALU_CYCLE_1)
	s_add_i32 s12, s13, 1
	v_sub_nc_u32_e64 v0, s12, s9 clamp
	s_min_u32 s14, s12, s8
	s_delay_alu instid0(VALU_DEP_1) | instid1(SALU_CYCLE_1)
	v_cmp_le_u32_e32 vcc_lo, s14, v0
	v_readfirstlane_b32 s9, v0
	s_cbranch_vccnz .LBB85_3
; %bb.1:
	v_mov_b32_e32 v0, 0
	s_mov_b32 s11, 0
	.p2align	6
.LBB85_2:                               ; =>This Inner Loop Header: Depth=1
	s_delay_alu instid0(VALU_DEP_2) | instskip(NEXT) | instid1(SALU_CYCLE_1)
	s_add_i32 s10, s14, s9
	s_lshr_b32 s15, s10, 1
	s_and_b32 s16, s10, -2
	s_sub_i32 s10, s13, s15
	v_mov_b32_e32 v1, s16
	s_lshl_b64 s[16:17], s[10:11], 1
	s_delay_alu instid0(SALU_CYCLE_1)
	s_add_u32 s16, s2, s16
	s_addc_u32 s17, s3, s17
	global_load_u16 v1, v1, s[0:1]
	global_load_u16 v2, v0, s[16:17]
	s_add_i32 s10, s15, 1
	s_waitcnt vmcnt(0)
	v_cmp_lt_f16_e32 vcc_lo, v2, v1
	s_and_b32 s16, vcc_lo, exec_lo
	s_cselect_b32 s14, s15, s14
	s_cselect_b32 s9, s9, s10
	s_delay_alu instid0(SALU_CYCLE_1)
	s_cmp_lt_u32 s9, s14
	s_cbranch_scc1 .LBB85_2
.LBB85_3:
	s_delay_alu instid0(VALU_DEP_1)
	s_min_u32 s0, s9, s8
	s_sub_i32 s1, s12, s9
	v_dual_mov_b32 v0, 0 :: v_dual_mov_b32 v1, s0
	v_mov_b32_e32 v2, s1
	s_clause 0x1
	global_store_b32 v0, v1, s[4:5]
	global_store_b32 v0, v2, s[6:7]
	s_nop 0
	s_sendmsg sendmsg(MSG_DEALLOC_VGPRS)
	s_endpgm
	.section	.rodata,"a",@progbits
	.p2align	6, 0x0
	.amdhsa_kernel _Z34thread_search_out_of_bounds_kernelI6__halfjN7rocprim17ROCPRIM_304000_NS4lessIS0_EEEvPT_S6_PT0_S8_S7_S7_T1_
		.amdhsa_group_segment_fixed_size 0
		.amdhsa_private_segment_fixed_size 0
		.amdhsa_kernarg_size 44
		.amdhsa_user_sgpr_count 15
		.amdhsa_user_sgpr_dispatch_ptr 0
		.amdhsa_user_sgpr_queue_ptr 0
		.amdhsa_user_sgpr_kernarg_segment_ptr 1
		.amdhsa_user_sgpr_dispatch_id 0
		.amdhsa_user_sgpr_private_segment_size 0
		.amdhsa_wavefront_size32 1
		.amdhsa_uses_dynamic_stack 0
		.amdhsa_enable_private_segment 0
		.amdhsa_system_sgpr_workgroup_id_x 1
		.amdhsa_system_sgpr_workgroup_id_y 0
		.amdhsa_system_sgpr_workgroup_id_z 0
		.amdhsa_system_sgpr_workgroup_info 0
		.amdhsa_system_vgpr_workitem_id 0
		.amdhsa_next_free_vgpr 3
		.amdhsa_next_free_sgpr 18
		.amdhsa_reserve_vcc 1
		.amdhsa_float_round_mode_32 0
		.amdhsa_float_round_mode_16_64 0
		.amdhsa_float_denorm_mode_32 3
		.amdhsa_float_denorm_mode_16_64 3
		.amdhsa_dx10_clamp 1
		.amdhsa_ieee_mode 1
		.amdhsa_fp16_overflow 0
		.amdhsa_workgroup_processor_mode 1
		.amdhsa_memory_ordered 1
		.amdhsa_forward_progress 0
		.amdhsa_shared_vgpr_count 0
		.amdhsa_exception_fp_ieee_invalid_op 0
		.amdhsa_exception_fp_denorm_src 0
		.amdhsa_exception_fp_ieee_div_zero 0
		.amdhsa_exception_fp_ieee_overflow 0
		.amdhsa_exception_fp_ieee_underflow 0
		.amdhsa_exception_fp_ieee_inexact 0
		.amdhsa_exception_int_div_zero 0
	.end_amdhsa_kernel
	.section	.text._Z34thread_search_out_of_bounds_kernelI6__halfjN7rocprim17ROCPRIM_304000_NS4lessIS0_EEEvPT_S6_PT0_S8_S7_S7_T1_,"axG",@progbits,_Z34thread_search_out_of_bounds_kernelI6__halfjN7rocprim17ROCPRIM_304000_NS4lessIS0_EEEvPT_S6_PT0_S8_S7_S7_T1_,comdat
.Lfunc_end85:
	.size	_Z34thread_search_out_of_bounds_kernelI6__halfjN7rocprim17ROCPRIM_304000_NS4lessIS0_EEEvPT_S6_PT0_S8_S7_S7_T1_, .Lfunc_end85-_Z34thread_search_out_of_bounds_kernelI6__halfjN7rocprim17ROCPRIM_304000_NS4lessIS0_EEEvPT_S6_PT0_S8_S7_S7_T1_
                                        ; -- End function
	.section	.AMDGPU.csdata,"",@progbits
; Kernel info:
; codeLenInByte = 220
; NumSgprs: 20
; NumVgprs: 3
; ScratchSize: 0
; MemoryBound: 0
; FloatMode: 240
; IeeeMode: 1
; LDSByteSize: 0 bytes/workgroup (compile time only)
; SGPRBlocks: 2
; VGPRBlocks: 0
; NumSGPRsForWavesPerEU: 20
; NumVGPRsForWavesPerEU: 3
; Occupancy: 16
; WaveLimiterHint : 0
; COMPUTE_PGM_RSRC2:SCRATCH_EN: 0
; COMPUTE_PGM_RSRC2:USER_SGPR: 15
; COMPUTE_PGM_RSRC2:TRAP_HANDLER: 0
; COMPUTE_PGM_RSRC2:TGID_X_EN: 1
; COMPUTE_PGM_RSRC2:TGID_Y_EN: 0
; COMPUTE_PGM_RSRC2:TGID_Z_EN: 0
; COMPUTE_PGM_RSRC2:TIDIG_COMP_CNT: 0
	.section	.text._Z20thread_search_kernelI6__halfjN7rocprim17ROCPRIM_304000_NS7greaterIS0_EETnT0_Lj4EEvPT_S7_PS5_S8_S5_S5_T1_,"axG",@progbits,_Z20thread_search_kernelI6__halfjN7rocprim17ROCPRIM_304000_NS7greaterIS0_EETnT0_Lj4EEvPT_S7_PS5_S8_S5_S5_T1_,comdat
	.protected	_Z20thread_search_kernelI6__halfjN7rocprim17ROCPRIM_304000_NS7greaterIS0_EETnT0_Lj4EEvPT_S7_PS5_S8_S5_S5_T1_ ; -- Begin function _Z20thread_search_kernelI6__halfjN7rocprim17ROCPRIM_304000_NS7greaterIS0_EETnT0_Lj4EEvPT_S7_PS5_S8_S5_S5_T1_
	.globl	_Z20thread_search_kernelI6__halfjN7rocprim17ROCPRIM_304000_NS7greaterIS0_EETnT0_Lj4EEvPT_S7_PS5_S8_S5_S5_T1_
	.p2align	8
	.type	_Z20thread_search_kernelI6__halfjN7rocprim17ROCPRIM_304000_NS7greaterIS0_EETnT0_Lj4EEvPT_S7_PS5_S8_S5_S5_T1_,@function
_Z20thread_search_kernelI6__halfjN7rocprim17ROCPRIM_304000_NS7greaterIS0_EETnT0_Lj4EEvPT_S7_PS5_S8_S5_S5_T1_: ; @_Z20thread_search_kernelI6__halfjN7rocprim17ROCPRIM_304000_NS7greaterIS0_EETnT0_Lj4EEvPT_S7_PS5_S8_S5_S5_T1_
; %bb.0:
	s_clause 0x1
	s_load_b32 s2, s[0:1], 0x3c
	s_load_b64 s[8:9], s[0:1], 0x20
	s_waitcnt lgkmcnt(0)
	s_and_b32 s2, s2, 0xffff
	s_delay_alu instid0(SALU_CYCLE_1) | instskip(SKIP_1) | instid1(VALU_DEP_1)
	v_mad_u64_u32 v[1:2], null, s15, s2, v[0:1]
	s_load_b256 s[0:7], s[0:1], 0x0
	v_lshlrev_b32_e32 v0, 2, v1
	s_delay_alu instid0(VALU_DEP_1) | instskip(SKIP_2) | instid1(VALU_DEP_1)
	v_sub_nc_u32_e64 v4, v0, s9 clamp
	v_min_u32_e32 v5, s8, v0
	s_mov_b32 s9, exec_lo
	v_cmpx_lt_u32_e64 v4, v5
	s_cbranch_execz .LBB86_4
; %bb.1:
	v_mov_b32_e32 v3, 0
	s_mov_b32 s10, 0
	.p2align	6
.LBB86_2:                               ; =>This Inner Loop Header: Depth=1
	v_add_nc_u32_e32 v8, v5, v4
	s_delay_alu instid0(VALU_DEP_1) | instskip(NEXT) | instid1(VALU_DEP_1)
	v_lshrrev_b32_e32 v9, 1, v8
	v_xad_u32 v2, v9, -1, v0
	s_delay_alu instid0(VALU_DEP_1) | instskip(SKIP_2) | instid1(VALU_DEP_2)
	v_lshlrev_b64 v[6:7], 1, v[2:3]
	v_and_b32_e32 v2, -2, v8
	s_waitcnt lgkmcnt(0)
	v_add_co_u32 v6, vcc_lo, s2, v6
	s_delay_alu instid0(VALU_DEP_3)
	v_add_co_ci_u32_e32 v7, vcc_lo, s3, v7, vcc_lo
	global_load_u16 v2, v2, s[0:1]
	global_load_u16 v6, v[6:7], off
	v_add_nc_u32_e32 v7, 1, v9
	s_waitcnt vmcnt(0)
	v_cmp_lt_f16_e32 vcc_lo, v2, v6
	s_delay_alu instid0(VALU_DEP_2) | instskip(NEXT) | instid1(VALU_DEP_1)
	v_dual_cndmask_b32 v5, v5, v9 :: v_dual_cndmask_b32 v4, v7, v4
	v_cmp_ge_u32_e32 vcc_lo, v4, v5
	s_or_b32 s10, vcc_lo, s10
	s_delay_alu instid0(SALU_CYCLE_1)
	s_and_not1_b32 exec_lo, exec_lo, s10
	s_cbranch_execnz .LBB86_2
; %bb.3:
	s_or_b32 exec_lo, exec_lo, s10
.LBB86_4:
	s_delay_alu instid0(SALU_CYCLE_1) | instskip(SKIP_3) | instid1(VALU_DEP_3)
	s_or_b32 exec_lo, exec_lo, s9
	v_mov_b32_e32 v2, 0
	v_min_u32_e32 v5, s8, v4
	v_sub_nc_u32_e32 v6, v0, v4
	v_lshlrev_b64 v[1:2], 2, v[1:2]
	s_waitcnt lgkmcnt(0)
	s_delay_alu instid0(VALU_DEP_1) | instskip(NEXT) | instid1(VALU_DEP_2)
	v_add_co_u32 v3, vcc_lo, s4, v1
	v_add_co_ci_u32_e32 v4, vcc_lo, s5, v2, vcc_lo
	v_add_co_u32 v0, vcc_lo, s6, v1
	v_add_co_ci_u32_e32 v1, vcc_lo, s7, v2, vcc_lo
	global_store_b32 v[3:4], v5, off
	global_store_b32 v[0:1], v6, off
	s_nop 0
	s_sendmsg sendmsg(MSG_DEALLOC_VGPRS)
	s_endpgm
	.section	.rodata,"a",@progbits
	.p2align	6, 0x0
	.amdhsa_kernel _Z20thread_search_kernelI6__halfjN7rocprim17ROCPRIM_304000_NS7greaterIS0_EETnT0_Lj4EEvPT_S7_PS5_S8_S5_S5_T1_
		.amdhsa_group_segment_fixed_size 0
		.amdhsa_private_segment_fixed_size 0
		.amdhsa_kernarg_size 304
		.amdhsa_user_sgpr_count 15
		.amdhsa_user_sgpr_dispatch_ptr 0
		.amdhsa_user_sgpr_queue_ptr 0
		.amdhsa_user_sgpr_kernarg_segment_ptr 1
		.amdhsa_user_sgpr_dispatch_id 0
		.amdhsa_user_sgpr_private_segment_size 0
		.amdhsa_wavefront_size32 1
		.amdhsa_uses_dynamic_stack 0
		.amdhsa_enable_private_segment 0
		.amdhsa_system_sgpr_workgroup_id_x 1
		.amdhsa_system_sgpr_workgroup_id_y 0
		.amdhsa_system_sgpr_workgroup_id_z 0
		.amdhsa_system_sgpr_workgroup_info 0
		.amdhsa_system_vgpr_workitem_id 0
		.amdhsa_next_free_vgpr 10
		.amdhsa_next_free_sgpr 16
		.amdhsa_reserve_vcc 1
		.amdhsa_float_round_mode_32 0
		.amdhsa_float_round_mode_16_64 0
		.amdhsa_float_denorm_mode_32 3
		.amdhsa_float_denorm_mode_16_64 3
		.amdhsa_dx10_clamp 1
		.amdhsa_ieee_mode 1
		.amdhsa_fp16_overflow 0
		.amdhsa_workgroup_processor_mode 1
		.amdhsa_memory_ordered 1
		.amdhsa_forward_progress 0
		.amdhsa_shared_vgpr_count 0
		.amdhsa_exception_fp_ieee_invalid_op 0
		.amdhsa_exception_fp_denorm_src 0
		.amdhsa_exception_fp_ieee_div_zero 0
		.amdhsa_exception_fp_ieee_overflow 0
		.amdhsa_exception_fp_ieee_underflow 0
		.amdhsa_exception_fp_ieee_inexact 0
		.amdhsa_exception_int_div_zero 0
	.end_amdhsa_kernel
	.section	.text._Z20thread_search_kernelI6__halfjN7rocprim17ROCPRIM_304000_NS7greaterIS0_EETnT0_Lj4EEvPT_S7_PS5_S8_S5_S5_T1_,"axG",@progbits,_Z20thread_search_kernelI6__halfjN7rocprim17ROCPRIM_304000_NS7greaterIS0_EETnT0_Lj4EEvPT_S7_PS5_S8_S5_S5_T1_,comdat
.Lfunc_end86:
	.size	_Z20thread_search_kernelI6__halfjN7rocprim17ROCPRIM_304000_NS7greaterIS0_EETnT0_Lj4EEvPT_S7_PS5_S8_S5_S5_T1_, .Lfunc_end86-_Z20thread_search_kernelI6__halfjN7rocprim17ROCPRIM_304000_NS7greaterIS0_EETnT0_Lj4EEvPT_S7_PS5_S8_S5_S5_T1_
                                        ; -- End function
	.section	.AMDGPU.csdata,"",@progbits
; Kernel info:
; codeLenInByte = 304
; NumSgprs: 18
; NumVgprs: 10
; ScratchSize: 0
; MemoryBound: 0
; FloatMode: 240
; IeeeMode: 1
; LDSByteSize: 0 bytes/workgroup (compile time only)
; SGPRBlocks: 2
; VGPRBlocks: 1
; NumSGPRsForWavesPerEU: 18
; NumVGPRsForWavesPerEU: 10
; Occupancy: 16
; WaveLimiterHint : 0
; COMPUTE_PGM_RSRC2:SCRATCH_EN: 0
; COMPUTE_PGM_RSRC2:USER_SGPR: 15
; COMPUTE_PGM_RSRC2:TRAP_HANDLER: 0
; COMPUTE_PGM_RSRC2:TGID_X_EN: 1
; COMPUTE_PGM_RSRC2:TGID_Y_EN: 0
; COMPUTE_PGM_RSRC2:TGID_Z_EN: 0
; COMPUTE_PGM_RSRC2:TIDIG_COMP_CNT: 0
	.section	.text._Z34thread_search_out_of_bounds_kernelI6__halfjN7rocprim17ROCPRIM_304000_NS7greaterIS0_EEEvPT_S6_PT0_S8_S7_S7_T1_,"axG",@progbits,_Z34thread_search_out_of_bounds_kernelI6__halfjN7rocprim17ROCPRIM_304000_NS7greaterIS0_EEEvPT_S6_PT0_S8_S7_S7_T1_,comdat
	.protected	_Z34thread_search_out_of_bounds_kernelI6__halfjN7rocprim17ROCPRIM_304000_NS7greaterIS0_EEEvPT_S6_PT0_S8_S7_S7_T1_ ; -- Begin function _Z34thread_search_out_of_bounds_kernelI6__halfjN7rocprim17ROCPRIM_304000_NS7greaterIS0_EEEvPT_S6_PT0_S8_S7_S7_T1_
	.globl	_Z34thread_search_out_of_bounds_kernelI6__halfjN7rocprim17ROCPRIM_304000_NS7greaterIS0_EEEvPT_S6_PT0_S8_S7_S7_T1_
	.p2align	8
	.type	_Z34thread_search_out_of_bounds_kernelI6__halfjN7rocprim17ROCPRIM_304000_NS7greaterIS0_EEEvPT_S6_PT0_S8_S7_S7_T1_,@function
_Z34thread_search_out_of_bounds_kernelI6__halfjN7rocprim17ROCPRIM_304000_NS7greaterIS0_EEEvPT_S6_PT0_S8_S7_S7_T1_: ; @_Z34thread_search_out_of_bounds_kernelI6__halfjN7rocprim17ROCPRIM_304000_NS7greaterIS0_EEEvPT_S6_PT0_S8_S7_S7_T1_
; %bb.0:
	s_clause 0x1
	s_load_b64 s[8:9], s[0:1], 0x20
	s_load_b256 s[0:7], s[0:1], 0x0
	s_waitcnt lgkmcnt(0)
	s_add_i32 s13, s9, s8
	s_delay_alu instid0(SALU_CYCLE_1) | instskip(NEXT) | instid1(SALU_CYCLE_1)
	s_add_i32 s12, s13, 1
	v_sub_nc_u32_e64 v0, s12, s9 clamp
	s_min_u32 s14, s12, s8
	s_delay_alu instid0(VALU_DEP_1) | instid1(SALU_CYCLE_1)
	v_cmp_le_u32_e32 vcc_lo, s14, v0
	v_readfirstlane_b32 s9, v0
	s_cbranch_vccnz .LBB87_3
; %bb.1:
	v_mov_b32_e32 v0, 0
	s_mov_b32 s11, 0
	.p2align	6
.LBB87_2:                               ; =>This Inner Loop Header: Depth=1
	s_delay_alu instid0(VALU_DEP_2) | instskip(NEXT) | instid1(SALU_CYCLE_1)
	s_add_i32 s10, s14, s9
	s_lshr_b32 s15, s10, 1
	s_and_b32 s16, s10, -2
	s_sub_i32 s10, s13, s15
	v_mov_b32_e32 v1, s16
	s_lshl_b64 s[16:17], s[10:11], 1
	s_delay_alu instid0(SALU_CYCLE_1)
	s_add_u32 s16, s2, s16
	s_addc_u32 s17, s3, s17
	global_load_u16 v1, v1, s[0:1]
	global_load_u16 v2, v0, s[16:17]
	s_add_i32 s10, s15, 1
	s_waitcnt vmcnt(0)
	v_cmp_lt_f16_e32 vcc_lo, v1, v2
	s_and_b32 s16, vcc_lo, exec_lo
	s_cselect_b32 s14, s15, s14
	s_cselect_b32 s9, s9, s10
	s_delay_alu instid0(SALU_CYCLE_1)
	s_cmp_lt_u32 s9, s14
	s_cbranch_scc1 .LBB87_2
.LBB87_3:
	s_delay_alu instid0(VALU_DEP_1)
	s_min_u32 s0, s9, s8
	s_sub_i32 s1, s12, s9
	v_dual_mov_b32 v0, 0 :: v_dual_mov_b32 v1, s0
	v_mov_b32_e32 v2, s1
	s_clause 0x1
	global_store_b32 v0, v1, s[4:5]
	global_store_b32 v0, v2, s[6:7]
	s_nop 0
	s_sendmsg sendmsg(MSG_DEALLOC_VGPRS)
	s_endpgm
	.section	.rodata,"a",@progbits
	.p2align	6, 0x0
	.amdhsa_kernel _Z34thread_search_out_of_bounds_kernelI6__halfjN7rocprim17ROCPRIM_304000_NS7greaterIS0_EEEvPT_S6_PT0_S8_S7_S7_T1_
		.amdhsa_group_segment_fixed_size 0
		.amdhsa_private_segment_fixed_size 0
		.amdhsa_kernarg_size 44
		.amdhsa_user_sgpr_count 15
		.amdhsa_user_sgpr_dispatch_ptr 0
		.amdhsa_user_sgpr_queue_ptr 0
		.amdhsa_user_sgpr_kernarg_segment_ptr 1
		.amdhsa_user_sgpr_dispatch_id 0
		.amdhsa_user_sgpr_private_segment_size 0
		.amdhsa_wavefront_size32 1
		.amdhsa_uses_dynamic_stack 0
		.amdhsa_enable_private_segment 0
		.amdhsa_system_sgpr_workgroup_id_x 1
		.amdhsa_system_sgpr_workgroup_id_y 0
		.amdhsa_system_sgpr_workgroup_id_z 0
		.amdhsa_system_sgpr_workgroup_info 0
		.amdhsa_system_vgpr_workitem_id 0
		.amdhsa_next_free_vgpr 3
		.amdhsa_next_free_sgpr 18
		.amdhsa_reserve_vcc 1
		.amdhsa_float_round_mode_32 0
		.amdhsa_float_round_mode_16_64 0
		.amdhsa_float_denorm_mode_32 3
		.amdhsa_float_denorm_mode_16_64 3
		.amdhsa_dx10_clamp 1
		.amdhsa_ieee_mode 1
		.amdhsa_fp16_overflow 0
		.amdhsa_workgroup_processor_mode 1
		.amdhsa_memory_ordered 1
		.amdhsa_forward_progress 0
		.amdhsa_shared_vgpr_count 0
		.amdhsa_exception_fp_ieee_invalid_op 0
		.amdhsa_exception_fp_denorm_src 0
		.amdhsa_exception_fp_ieee_div_zero 0
		.amdhsa_exception_fp_ieee_overflow 0
		.amdhsa_exception_fp_ieee_underflow 0
		.amdhsa_exception_fp_ieee_inexact 0
		.amdhsa_exception_int_div_zero 0
	.end_amdhsa_kernel
	.section	.text._Z34thread_search_out_of_bounds_kernelI6__halfjN7rocprim17ROCPRIM_304000_NS7greaterIS0_EEEvPT_S6_PT0_S8_S7_S7_T1_,"axG",@progbits,_Z34thread_search_out_of_bounds_kernelI6__halfjN7rocprim17ROCPRIM_304000_NS7greaterIS0_EEEvPT_S6_PT0_S8_S7_S7_T1_,comdat
.Lfunc_end87:
	.size	_Z34thread_search_out_of_bounds_kernelI6__halfjN7rocprim17ROCPRIM_304000_NS7greaterIS0_EEEvPT_S6_PT0_S8_S7_S7_T1_, .Lfunc_end87-_Z34thread_search_out_of_bounds_kernelI6__halfjN7rocprim17ROCPRIM_304000_NS7greaterIS0_EEEvPT_S6_PT0_S8_S7_S7_T1_
                                        ; -- End function
	.section	.AMDGPU.csdata,"",@progbits
; Kernel info:
; codeLenInByte = 220
; NumSgprs: 20
; NumVgprs: 3
; ScratchSize: 0
; MemoryBound: 0
; FloatMode: 240
; IeeeMode: 1
; LDSByteSize: 0 bytes/workgroup (compile time only)
; SGPRBlocks: 2
; VGPRBlocks: 0
; NumSGPRsForWavesPerEU: 20
; NumVGPRsForWavesPerEU: 3
; Occupancy: 16
; WaveLimiterHint : 0
; COMPUTE_PGM_RSRC2:SCRATCH_EN: 0
; COMPUTE_PGM_RSRC2:USER_SGPR: 15
; COMPUTE_PGM_RSRC2:TRAP_HANDLER: 0
; COMPUTE_PGM_RSRC2:TGID_X_EN: 1
; COMPUTE_PGM_RSRC2:TGID_Y_EN: 0
; COMPUTE_PGM_RSRC2:TGID_Z_EN: 0
; COMPUTE_PGM_RSRC2:TIDIG_COMP_CNT: 0
	.section	.text._Z20thread_search_kernelIijN7rocprim17ROCPRIM_304000_NS4lessIiEETnT0_Lj4EEvPT_S6_PS4_S7_S4_S4_T1_,"axG",@progbits,_Z20thread_search_kernelIijN7rocprim17ROCPRIM_304000_NS4lessIiEETnT0_Lj4EEvPT_S6_PS4_S7_S4_S4_T1_,comdat
	.protected	_Z20thread_search_kernelIijN7rocprim17ROCPRIM_304000_NS4lessIiEETnT0_Lj4EEvPT_S6_PS4_S7_S4_S4_T1_ ; -- Begin function _Z20thread_search_kernelIijN7rocprim17ROCPRIM_304000_NS4lessIiEETnT0_Lj4EEvPT_S6_PS4_S7_S4_S4_T1_
	.globl	_Z20thread_search_kernelIijN7rocprim17ROCPRIM_304000_NS4lessIiEETnT0_Lj4EEvPT_S6_PS4_S7_S4_S4_T1_
	.p2align	8
	.type	_Z20thread_search_kernelIijN7rocprim17ROCPRIM_304000_NS4lessIiEETnT0_Lj4EEvPT_S6_PS4_S7_S4_S4_T1_,@function
_Z20thread_search_kernelIijN7rocprim17ROCPRIM_304000_NS4lessIiEETnT0_Lj4EEvPT_S6_PS4_S7_S4_S4_T1_: ; @_Z20thread_search_kernelIijN7rocprim17ROCPRIM_304000_NS4lessIiEETnT0_Lj4EEvPT_S6_PS4_S7_S4_S4_T1_
; %bb.0:
	s_clause 0x1
	s_load_b32 s2, s[0:1], 0x3c
	s_load_b64 s[8:9], s[0:1], 0x20
	s_waitcnt lgkmcnt(0)
	s_and_b32 s2, s2, 0xffff
	s_delay_alu instid0(SALU_CYCLE_1) | instskip(SKIP_1) | instid1(VALU_DEP_1)
	v_mad_u64_u32 v[1:2], null, s15, s2, v[0:1]
	s_load_b256 s[0:7], s[0:1], 0x0
	v_lshlrev_b32_e32 v0, 2, v1
	s_delay_alu instid0(VALU_DEP_1) | instskip(SKIP_2) | instid1(VALU_DEP_1)
	v_sub_nc_u32_e64 v4, v0, s9 clamp
	v_min_u32_e32 v5, s8, v0
	s_mov_b32 s9, exec_lo
	v_cmpx_lt_u32_e64 v4, v5
	s_cbranch_execz .LBB88_4
; %bb.1:
	v_mov_b32_e32 v3, 0
	s_mov_b32 s10, 0
	.p2align	6
.LBB88_2:                               ; =>This Inner Loop Header: Depth=1
	s_delay_alu instid0(VALU_DEP_1) | instskip(NEXT) | instid1(VALU_DEP_1)
	v_dual_mov_b32 v7, v3 :: v_dual_add_nc_u32 v2, v5, v4
	v_lshrrev_b32_e32 v2, 1, v2
	s_delay_alu instid0(VALU_DEP_1) | instskip(SKIP_1) | instid1(VALU_DEP_2)
	v_xad_u32 v6, v2, -1, v0
	v_lshlrev_b64 v[8:9], 2, v[2:3]
	v_lshlrev_b64 v[6:7], 2, v[6:7]
	s_waitcnt lgkmcnt(0)
	s_delay_alu instid0(VALU_DEP_2) | instskip(NEXT) | instid1(VALU_DEP_3)
	v_add_co_u32 v8, vcc_lo, s0, v8
	v_add_co_ci_u32_e32 v9, vcc_lo, s1, v9, vcc_lo
	s_delay_alu instid0(VALU_DEP_3) | instskip(NEXT) | instid1(VALU_DEP_4)
	v_add_co_u32 v6, vcc_lo, s2, v6
	v_add_co_ci_u32_e32 v7, vcc_lo, s3, v7, vcc_lo
	global_load_b32 v8, v[8:9], off
	global_load_b32 v6, v[6:7], off
	v_add_nc_u32_e32 v7, 1, v2
	s_waitcnt vmcnt(0)
	v_cmp_lt_i32_e32 vcc_lo, v6, v8
	s_delay_alu instid0(VALU_DEP_2) | instskip(NEXT) | instid1(VALU_DEP_1)
	v_dual_cndmask_b32 v5, v5, v2 :: v_dual_cndmask_b32 v4, v7, v4
	v_cmp_ge_u32_e32 vcc_lo, v4, v5
	s_or_b32 s10, vcc_lo, s10
	s_delay_alu instid0(SALU_CYCLE_1)
	s_and_not1_b32 exec_lo, exec_lo, s10
	s_cbranch_execnz .LBB88_2
; %bb.3:
	s_or_b32 exec_lo, exec_lo, s10
.LBB88_4:
	s_delay_alu instid0(SALU_CYCLE_1) | instskip(SKIP_3) | instid1(VALU_DEP_3)
	s_or_b32 exec_lo, exec_lo, s9
	v_mov_b32_e32 v2, 0
	v_min_u32_e32 v5, s8, v4
	v_sub_nc_u32_e32 v6, v0, v4
	v_lshlrev_b64 v[1:2], 2, v[1:2]
	s_waitcnt lgkmcnt(0)
	s_delay_alu instid0(VALU_DEP_1) | instskip(NEXT) | instid1(VALU_DEP_2)
	v_add_co_u32 v3, vcc_lo, s4, v1
	v_add_co_ci_u32_e32 v4, vcc_lo, s5, v2, vcc_lo
	v_add_co_u32 v0, vcc_lo, s6, v1
	v_add_co_ci_u32_e32 v1, vcc_lo, s7, v2, vcc_lo
	global_store_b32 v[3:4], v5, off
	global_store_b32 v[0:1], v6, off
	s_nop 0
	s_sendmsg sendmsg(MSG_DEALLOC_VGPRS)
	s_endpgm
	.section	.rodata,"a",@progbits
	.p2align	6, 0x0
	.amdhsa_kernel _Z20thread_search_kernelIijN7rocprim17ROCPRIM_304000_NS4lessIiEETnT0_Lj4EEvPT_S6_PS4_S7_S4_S4_T1_
		.amdhsa_group_segment_fixed_size 0
		.amdhsa_private_segment_fixed_size 0
		.amdhsa_kernarg_size 304
		.amdhsa_user_sgpr_count 15
		.amdhsa_user_sgpr_dispatch_ptr 0
		.amdhsa_user_sgpr_queue_ptr 0
		.amdhsa_user_sgpr_kernarg_segment_ptr 1
		.amdhsa_user_sgpr_dispatch_id 0
		.amdhsa_user_sgpr_private_segment_size 0
		.amdhsa_wavefront_size32 1
		.amdhsa_uses_dynamic_stack 0
		.amdhsa_enable_private_segment 0
		.amdhsa_system_sgpr_workgroup_id_x 1
		.amdhsa_system_sgpr_workgroup_id_y 0
		.amdhsa_system_sgpr_workgroup_id_z 0
		.amdhsa_system_sgpr_workgroup_info 0
		.amdhsa_system_vgpr_workitem_id 0
		.amdhsa_next_free_vgpr 10
		.amdhsa_next_free_sgpr 16
		.amdhsa_reserve_vcc 1
		.amdhsa_float_round_mode_32 0
		.amdhsa_float_round_mode_16_64 0
		.amdhsa_float_denorm_mode_32 3
		.amdhsa_float_denorm_mode_16_64 3
		.amdhsa_dx10_clamp 1
		.amdhsa_ieee_mode 1
		.amdhsa_fp16_overflow 0
		.amdhsa_workgroup_processor_mode 1
		.amdhsa_memory_ordered 1
		.amdhsa_forward_progress 0
		.amdhsa_shared_vgpr_count 0
		.amdhsa_exception_fp_ieee_invalid_op 0
		.amdhsa_exception_fp_denorm_src 0
		.amdhsa_exception_fp_ieee_div_zero 0
		.amdhsa_exception_fp_ieee_overflow 0
		.amdhsa_exception_fp_ieee_underflow 0
		.amdhsa_exception_fp_ieee_inexact 0
		.amdhsa_exception_int_div_zero 0
	.end_amdhsa_kernel
	.section	.text._Z20thread_search_kernelIijN7rocprim17ROCPRIM_304000_NS4lessIiEETnT0_Lj4EEvPT_S6_PS4_S7_S4_S4_T1_,"axG",@progbits,_Z20thread_search_kernelIijN7rocprim17ROCPRIM_304000_NS4lessIiEETnT0_Lj4EEvPT_S6_PS4_S7_S4_S4_T1_,comdat
.Lfunc_end88:
	.size	_Z20thread_search_kernelIijN7rocprim17ROCPRIM_304000_NS4lessIiEETnT0_Lj4EEvPT_S6_PS4_S7_S4_S4_T1_, .Lfunc_end88-_Z20thread_search_kernelIijN7rocprim17ROCPRIM_304000_NS4lessIiEETnT0_Lj4EEvPT_S6_PS4_S7_S4_S4_T1_
                                        ; -- End function
	.section	.AMDGPU.csdata,"",@progbits
; Kernel info:
; codeLenInByte = 328
; NumSgprs: 18
; NumVgprs: 10
; ScratchSize: 0
; MemoryBound: 0
; FloatMode: 240
; IeeeMode: 1
; LDSByteSize: 0 bytes/workgroup (compile time only)
; SGPRBlocks: 2
; VGPRBlocks: 1
; NumSGPRsForWavesPerEU: 18
; NumVGPRsForWavesPerEU: 10
; Occupancy: 16
; WaveLimiterHint : 0
; COMPUTE_PGM_RSRC2:SCRATCH_EN: 0
; COMPUTE_PGM_RSRC2:USER_SGPR: 15
; COMPUTE_PGM_RSRC2:TRAP_HANDLER: 0
; COMPUTE_PGM_RSRC2:TGID_X_EN: 1
; COMPUTE_PGM_RSRC2:TGID_Y_EN: 0
; COMPUTE_PGM_RSRC2:TGID_Z_EN: 0
; COMPUTE_PGM_RSRC2:TIDIG_COMP_CNT: 0
	.section	.text._Z34thread_search_out_of_bounds_kernelIijN7rocprim17ROCPRIM_304000_NS4lessIiEEEvPT_S5_PT0_S7_S6_S6_T1_,"axG",@progbits,_Z34thread_search_out_of_bounds_kernelIijN7rocprim17ROCPRIM_304000_NS4lessIiEEEvPT_S5_PT0_S7_S6_S6_T1_,comdat
	.protected	_Z34thread_search_out_of_bounds_kernelIijN7rocprim17ROCPRIM_304000_NS4lessIiEEEvPT_S5_PT0_S7_S6_S6_T1_ ; -- Begin function _Z34thread_search_out_of_bounds_kernelIijN7rocprim17ROCPRIM_304000_NS4lessIiEEEvPT_S5_PT0_S7_S6_S6_T1_
	.globl	_Z34thread_search_out_of_bounds_kernelIijN7rocprim17ROCPRIM_304000_NS4lessIiEEEvPT_S5_PT0_S7_S6_S6_T1_
	.p2align	8
	.type	_Z34thread_search_out_of_bounds_kernelIijN7rocprim17ROCPRIM_304000_NS4lessIiEEEvPT_S5_PT0_S7_S6_S6_T1_,@function
_Z34thread_search_out_of_bounds_kernelIijN7rocprim17ROCPRIM_304000_NS4lessIiEEEvPT_S5_PT0_S7_S6_S6_T1_: ; @_Z34thread_search_out_of_bounds_kernelIijN7rocprim17ROCPRIM_304000_NS4lessIiEEEvPT_S5_PT0_S7_S6_S6_T1_
; %bb.0:
	s_clause 0x1
	s_load_b64 s[8:9], s[0:1], 0x20
	s_load_b256 s[0:7], s[0:1], 0x0
	s_waitcnt lgkmcnt(0)
	s_add_i32 s13, s9, s8
	s_delay_alu instid0(SALU_CYCLE_1) | instskip(NEXT) | instid1(SALU_CYCLE_1)
	s_add_i32 s12, s13, 1
	v_sub_nc_u32_e64 v0, s12, s9 clamp
	s_min_u32 s14, s12, s8
	s_delay_alu instid0(VALU_DEP_1) | instid1(SALU_CYCLE_1)
	v_cmp_le_u32_e32 vcc_lo, s14, v0
	v_readfirstlane_b32 s9, v0
	s_cbranch_vccnz .LBB89_3
; %bb.1:
	s_mov_b32 s11, 0
	.p2align	6
.LBB89_2:                               ; =>This Inner Loop Header: Depth=1
	s_delay_alu instid0(VALU_DEP_1) | instskip(SKIP_2) | instid1(SALU_CYCLE_1)
	s_add_i32 s10, s14, s9
	s_mov_b32 s17, s11
	s_lshr_b32 s10, s10, 1
	s_lshl_b64 s[18:19], s[10:11], 2
	s_sub_i32 s16, s13, s10
	s_add_u32 s18, s0, s18
	s_addc_u32 s19, s1, s19
	s_lshl_b64 s[16:17], s[16:17], 2
	s_load_b32 s15, s[18:19], 0x0
	s_add_u32 s16, s2, s16
	s_addc_u32 s17, s3, s17
	s_load_b32 s16, s[16:17], 0x0
	s_add_i32 s17, s10, 1
	s_waitcnt lgkmcnt(0)
	s_cmp_lt_i32 s16, s15
	s_cselect_b32 s14, s10, s14
	s_cselect_b32 s9, s9, s17
	s_delay_alu instid0(SALU_CYCLE_1)
	s_cmp_lt_u32 s9, s14
	s_cbranch_scc1 .LBB89_2
.LBB89_3:
	s_delay_alu instid0(VALU_DEP_1)
	s_min_u32 s0, s9, s8
	s_sub_i32 s1, s12, s9
	v_dual_mov_b32 v0, 0 :: v_dual_mov_b32 v1, s0
	v_mov_b32_e32 v2, s1
	s_clause 0x1
	global_store_b32 v0, v1, s[4:5]
	global_store_b32 v0, v2, s[6:7]
	s_nop 0
	s_sendmsg sendmsg(MSG_DEALLOC_VGPRS)
	s_endpgm
	.section	.rodata,"a",@progbits
	.p2align	6, 0x0
	.amdhsa_kernel _Z34thread_search_out_of_bounds_kernelIijN7rocprim17ROCPRIM_304000_NS4lessIiEEEvPT_S5_PT0_S7_S6_S6_T1_
		.amdhsa_group_segment_fixed_size 0
		.amdhsa_private_segment_fixed_size 0
		.amdhsa_kernarg_size 44
		.amdhsa_user_sgpr_count 15
		.amdhsa_user_sgpr_dispatch_ptr 0
		.amdhsa_user_sgpr_queue_ptr 0
		.amdhsa_user_sgpr_kernarg_segment_ptr 1
		.amdhsa_user_sgpr_dispatch_id 0
		.amdhsa_user_sgpr_private_segment_size 0
		.amdhsa_wavefront_size32 1
		.amdhsa_uses_dynamic_stack 0
		.amdhsa_enable_private_segment 0
		.amdhsa_system_sgpr_workgroup_id_x 1
		.amdhsa_system_sgpr_workgroup_id_y 0
		.amdhsa_system_sgpr_workgroup_id_z 0
		.amdhsa_system_sgpr_workgroup_info 0
		.amdhsa_system_vgpr_workitem_id 0
		.amdhsa_next_free_vgpr 3
		.amdhsa_next_free_sgpr 20
		.amdhsa_reserve_vcc 1
		.amdhsa_float_round_mode_32 0
		.amdhsa_float_round_mode_16_64 0
		.amdhsa_float_denorm_mode_32 3
		.amdhsa_float_denorm_mode_16_64 3
		.amdhsa_dx10_clamp 1
		.amdhsa_ieee_mode 1
		.amdhsa_fp16_overflow 0
		.amdhsa_workgroup_processor_mode 1
		.amdhsa_memory_ordered 1
		.amdhsa_forward_progress 0
		.amdhsa_shared_vgpr_count 0
		.amdhsa_exception_fp_ieee_invalid_op 0
		.amdhsa_exception_fp_denorm_src 0
		.amdhsa_exception_fp_ieee_div_zero 0
		.amdhsa_exception_fp_ieee_overflow 0
		.amdhsa_exception_fp_ieee_underflow 0
		.amdhsa_exception_fp_ieee_inexact 0
		.amdhsa_exception_int_div_zero 0
	.end_amdhsa_kernel
	.section	.text._Z34thread_search_out_of_bounds_kernelIijN7rocprim17ROCPRIM_304000_NS4lessIiEEEvPT_S5_PT0_S7_S6_S6_T1_,"axG",@progbits,_Z34thread_search_out_of_bounds_kernelIijN7rocprim17ROCPRIM_304000_NS4lessIiEEEvPT_S5_PT0_S7_S6_S6_T1_,comdat
.Lfunc_end89:
	.size	_Z34thread_search_out_of_bounds_kernelIijN7rocprim17ROCPRIM_304000_NS4lessIiEEEvPT_S5_PT0_S7_S6_S6_T1_, .Lfunc_end89-_Z34thread_search_out_of_bounds_kernelIijN7rocprim17ROCPRIM_304000_NS4lessIiEEEvPT_S5_PT0_S7_S6_S6_T1_
                                        ; -- End function
	.section	.AMDGPU.csdata,"",@progbits
; Kernel info:
; codeLenInByte = 216
; NumSgprs: 22
; NumVgprs: 3
; ScratchSize: 0
; MemoryBound: 0
; FloatMode: 240
; IeeeMode: 1
; LDSByteSize: 0 bytes/workgroup (compile time only)
; SGPRBlocks: 2
; VGPRBlocks: 0
; NumSGPRsForWavesPerEU: 22
; NumVGPRsForWavesPerEU: 3
; Occupancy: 16
; WaveLimiterHint : 0
; COMPUTE_PGM_RSRC2:SCRATCH_EN: 0
; COMPUTE_PGM_RSRC2:USER_SGPR: 15
; COMPUTE_PGM_RSRC2:TRAP_HANDLER: 0
; COMPUTE_PGM_RSRC2:TGID_X_EN: 1
; COMPUTE_PGM_RSRC2:TGID_Y_EN: 0
; COMPUTE_PGM_RSRC2:TGID_Z_EN: 0
; COMPUTE_PGM_RSRC2:TIDIG_COMP_CNT: 0
	.section	.text._Z20thread_search_kernelIijN7rocprim17ROCPRIM_304000_NS7greaterIiEETnT0_Lj4EEvPT_S6_PS4_S7_S4_S4_T1_,"axG",@progbits,_Z20thread_search_kernelIijN7rocprim17ROCPRIM_304000_NS7greaterIiEETnT0_Lj4EEvPT_S6_PS4_S7_S4_S4_T1_,comdat
	.protected	_Z20thread_search_kernelIijN7rocprim17ROCPRIM_304000_NS7greaterIiEETnT0_Lj4EEvPT_S6_PS4_S7_S4_S4_T1_ ; -- Begin function _Z20thread_search_kernelIijN7rocprim17ROCPRIM_304000_NS7greaterIiEETnT0_Lj4EEvPT_S6_PS4_S7_S4_S4_T1_
	.globl	_Z20thread_search_kernelIijN7rocprim17ROCPRIM_304000_NS7greaterIiEETnT0_Lj4EEvPT_S6_PS4_S7_S4_S4_T1_
	.p2align	8
	.type	_Z20thread_search_kernelIijN7rocprim17ROCPRIM_304000_NS7greaterIiEETnT0_Lj4EEvPT_S6_PS4_S7_S4_S4_T1_,@function
_Z20thread_search_kernelIijN7rocprim17ROCPRIM_304000_NS7greaterIiEETnT0_Lj4EEvPT_S6_PS4_S7_S4_S4_T1_: ; @_Z20thread_search_kernelIijN7rocprim17ROCPRIM_304000_NS7greaterIiEETnT0_Lj4EEvPT_S6_PS4_S7_S4_S4_T1_
; %bb.0:
	s_clause 0x1
	s_load_b32 s2, s[0:1], 0x3c
	s_load_b64 s[8:9], s[0:1], 0x20
	s_waitcnt lgkmcnt(0)
	s_and_b32 s2, s2, 0xffff
	s_delay_alu instid0(SALU_CYCLE_1) | instskip(SKIP_1) | instid1(VALU_DEP_1)
	v_mad_u64_u32 v[1:2], null, s15, s2, v[0:1]
	s_load_b256 s[0:7], s[0:1], 0x0
	v_lshlrev_b32_e32 v0, 2, v1
	s_delay_alu instid0(VALU_DEP_1) | instskip(SKIP_2) | instid1(VALU_DEP_1)
	v_sub_nc_u32_e64 v4, v0, s9 clamp
	v_min_u32_e32 v5, s8, v0
	s_mov_b32 s9, exec_lo
	v_cmpx_lt_u32_e64 v4, v5
	s_cbranch_execz .LBB90_4
; %bb.1:
	v_mov_b32_e32 v3, 0
	s_mov_b32 s10, 0
	.p2align	6
.LBB90_2:                               ; =>This Inner Loop Header: Depth=1
	s_delay_alu instid0(VALU_DEP_1) | instskip(NEXT) | instid1(VALU_DEP_1)
	v_dual_mov_b32 v7, v3 :: v_dual_add_nc_u32 v2, v5, v4
	v_lshrrev_b32_e32 v2, 1, v2
	s_delay_alu instid0(VALU_DEP_1) | instskip(SKIP_1) | instid1(VALU_DEP_2)
	v_xad_u32 v6, v2, -1, v0
	v_lshlrev_b64 v[8:9], 2, v[2:3]
	v_lshlrev_b64 v[6:7], 2, v[6:7]
	s_waitcnt lgkmcnt(0)
	s_delay_alu instid0(VALU_DEP_2) | instskip(NEXT) | instid1(VALU_DEP_3)
	v_add_co_u32 v8, vcc_lo, s0, v8
	v_add_co_ci_u32_e32 v9, vcc_lo, s1, v9, vcc_lo
	s_delay_alu instid0(VALU_DEP_3) | instskip(NEXT) | instid1(VALU_DEP_4)
	v_add_co_u32 v6, vcc_lo, s2, v6
	v_add_co_ci_u32_e32 v7, vcc_lo, s3, v7, vcc_lo
	global_load_b32 v8, v[8:9], off
	global_load_b32 v6, v[6:7], off
	v_add_nc_u32_e32 v7, 1, v2
	s_waitcnt vmcnt(0)
	v_cmp_gt_i32_e32 vcc_lo, v6, v8
	s_delay_alu instid0(VALU_DEP_2) | instskip(NEXT) | instid1(VALU_DEP_1)
	v_dual_cndmask_b32 v5, v5, v2 :: v_dual_cndmask_b32 v4, v7, v4
	v_cmp_ge_u32_e32 vcc_lo, v4, v5
	s_or_b32 s10, vcc_lo, s10
	s_delay_alu instid0(SALU_CYCLE_1)
	s_and_not1_b32 exec_lo, exec_lo, s10
	s_cbranch_execnz .LBB90_2
; %bb.3:
	s_or_b32 exec_lo, exec_lo, s10
.LBB90_4:
	s_delay_alu instid0(SALU_CYCLE_1) | instskip(SKIP_3) | instid1(VALU_DEP_3)
	s_or_b32 exec_lo, exec_lo, s9
	v_mov_b32_e32 v2, 0
	v_min_u32_e32 v5, s8, v4
	v_sub_nc_u32_e32 v6, v0, v4
	v_lshlrev_b64 v[1:2], 2, v[1:2]
	s_waitcnt lgkmcnt(0)
	s_delay_alu instid0(VALU_DEP_1) | instskip(NEXT) | instid1(VALU_DEP_2)
	v_add_co_u32 v3, vcc_lo, s4, v1
	v_add_co_ci_u32_e32 v4, vcc_lo, s5, v2, vcc_lo
	v_add_co_u32 v0, vcc_lo, s6, v1
	v_add_co_ci_u32_e32 v1, vcc_lo, s7, v2, vcc_lo
	global_store_b32 v[3:4], v5, off
	global_store_b32 v[0:1], v6, off
	s_nop 0
	s_sendmsg sendmsg(MSG_DEALLOC_VGPRS)
	s_endpgm
	.section	.rodata,"a",@progbits
	.p2align	6, 0x0
	.amdhsa_kernel _Z20thread_search_kernelIijN7rocprim17ROCPRIM_304000_NS7greaterIiEETnT0_Lj4EEvPT_S6_PS4_S7_S4_S4_T1_
		.amdhsa_group_segment_fixed_size 0
		.amdhsa_private_segment_fixed_size 0
		.amdhsa_kernarg_size 304
		.amdhsa_user_sgpr_count 15
		.amdhsa_user_sgpr_dispatch_ptr 0
		.amdhsa_user_sgpr_queue_ptr 0
		.amdhsa_user_sgpr_kernarg_segment_ptr 1
		.amdhsa_user_sgpr_dispatch_id 0
		.amdhsa_user_sgpr_private_segment_size 0
		.amdhsa_wavefront_size32 1
		.amdhsa_uses_dynamic_stack 0
		.amdhsa_enable_private_segment 0
		.amdhsa_system_sgpr_workgroup_id_x 1
		.amdhsa_system_sgpr_workgroup_id_y 0
		.amdhsa_system_sgpr_workgroup_id_z 0
		.amdhsa_system_sgpr_workgroup_info 0
		.amdhsa_system_vgpr_workitem_id 0
		.amdhsa_next_free_vgpr 10
		.amdhsa_next_free_sgpr 16
		.amdhsa_reserve_vcc 1
		.amdhsa_float_round_mode_32 0
		.amdhsa_float_round_mode_16_64 0
		.amdhsa_float_denorm_mode_32 3
		.amdhsa_float_denorm_mode_16_64 3
		.amdhsa_dx10_clamp 1
		.amdhsa_ieee_mode 1
		.amdhsa_fp16_overflow 0
		.amdhsa_workgroup_processor_mode 1
		.amdhsa_memory_ordered 1
		.amdhsa_forward_progress 0
		.amdhsa_shared_vgpr_count 0
		.amdhsa_exception_fp_ieee_invalid_op 0
		.amdhsa_exception_fp_denorm_src 0
		.amdhsa_exception_fp_ieee_div_zero 0
		.amdhsa_exception_fp_ieee_overflow 0
		.amdhsa_exception_fp_ieee_underflow 0
		.amdhsa_exception_fp_ieee_inexact 0
		.amdhsa_exception_int_div_zero 0
	.end_amdhsa_kernel
	.section	.text._Z20thread_search_kernelIijN7rocprim17ROCPRIM_304000_NS7greaterIiEETnT0_Lj4EEvPT_S6_PS4_S7_S4_S4_T1_,"axG",@progbits,_Z20thread_search_kernelIijN7rocprim17ROCPRIM_304000_NS7greaterIiEETnT0_Lj4EEvPT_S6_PS4_S7_S4_S4_T1_,comdat
.Lfunc_end90:
	.size	_Z20thread_search_kernelIijN7rocprim17ROCPRIM_304000_NS7greaterIiEETnT0_Lj4EEvPT_S6_PS4_S7_S4_S4_T1_, .Lfunc_end90-_Z20thread_search_kernelIijN7rocprim17ROCPRIM_304000_NS7greaterIiEETnT0_Lj4EEvPT_S6_PS4_S7_S4_S4_T1_
                                        ; -- End function
	.section	.AMDGPU.csdata,"",@progbits
; Kernel info:
; codeLenInByte = 328
; NumSgprs: 18
; NumVgprs: 10
; ScratchSize: 0
; MemoryBound: 0
; FloatMode: 240
; IeeeMode: 1
; LDSByteSize: 0 bytes/workgroup (compile time only)
; SGPRBlocks: 2
; VGPRBlocks: 1
; NumSGPRsForWavesPerEU: 18
; NumVGPRsForWavesPerEU: 10
; Occupancy: 16
; WaveLimiterHint : 0
; COMPUTE_PGM_RSRC2:SCRATCH_EN: 0
; COMPUTE_PGM_RSRC2:USER_SGPR: 15
; COMPUTE_PGM_RSRC2:TRAP_HANDLER: 0
; COMPUTE_PGM_RSRC2:TGID_X_EN: 1
; COMPUTE_PGM_RSRC2:TGID_Y_EN: 0
; COMPUTE_PGM_RSRC2:TGID_Z_EN: 0
; COMPUTE_PGM_RSRC2:TIDIG_COMP_CNT: 0
	.section	.text._Z34thread_search_out_of_bounds_kernelIijN7rocprim17ROCPRIM_304000_NS7greaterIiEEEvPT_S5_PT0_S7_S6_S6_T1_,"axG",@progbits,_Z34thread_search_out_of_bounds_kernelIijN7rocprim17ROCPRIM_304000_NS7greaterIiEEEvPT_S5_PT0_S7_S6_S6_T1_,comdat
	.protected	_Z34thread_search_out_of_bounds_kernelIijN7rocprim17ROCPRIM_304000_NS7greaterIiEEEvPT_S5_PT0_S7_S6_S6_T1_ ; -- Begin function _Z34thread_search_out_of_bounds_kernelIijN7rocprim17ROCPRIM_304000_NS7greaterIiEEEvPT_S5_PT0_S7_S6_S6_T1_
	.globl	_Z34thread_search_out_of_bounds_kernelIijN7rocprim17ROCPRIM_304000_NS7greaterIiEEEvPT_S5_PT0_S7_S6_S6_T1_
	.p2align	8
	.type	_Z34thread_search_out_of_bounds_kernelIijN7rocprim17ROCPRIM_304000_NS7greaterIiEEEvPT_S5_PT0_S7_S6_S6_T1_,@function
_Z34thread_search_out_of_bounds_kernelIijN7rocprim17ROCPRIM_304000_NS7greaterIiEEEvPT_S5_PT0_S7_S6_S6_T1_: ; @_Z34thread_search_out_of_bounds_kernelIijN7rocprim17ROCPRIM_304000_NS7greaterIiEEEvPT_S5_PT0_S7_S6_S6_T1_
; %bb.0:
	s_clause 0x1
	s_load_b64 s[8:9], s[0:1], 0x20
	s_load_b256 s[0:7], s[0:1], 0x0
	s_waitcnt lgkmcnt(0)
	s_add_i32 s13, s9, s8
	s_delay_alu instid0(SALU_CYCLE_1) | instskip(NEXT) | instid1(SALU_CYCLE_1)
	s_add_i32 s12, s13, 1
	v_sub_nc_u32_e64 v0, s12, s9 clamp
	s_min_u32 s14, s12, s8
	s_delay_alu instid0(VALU_DEP_1) | instid1(SALU_CYCLE_1)
	v_cmp_le_u32_e32 vcc_lo, s14, v0
	v_readfirstlane_b32 s9, v0
	s_cbranch_vccnz .LBB91_3
; %bb.1:
	s_mov_b32 s11, 0
	.p2align	6
.LBB91_2:                               ; =>This Inner Loop Header: Depth=1
	s_delay_alu instid0(VALU_DEP_1) | instskip(SKIP_2) | instid1(SALU_CYCLE_1)
	s_add_i32 s10, s14, s9
	s_mov_b32 s17, s11
	s_lshr_b32 s10, s10, 1
	s_lshl_b64 s[18:19], s[10:11], 2
	s_sub_i32 s16, s13, s10
	s_add_u32 s18, s0, s18
	s_addc_u32 s19, s1, s19
	s_lshl_b64 s[16:17], s[16:17], 2
	s_load_b32 s15, s[18:19], 0x0
	s_add_u32 s16, s2, s16
	s_addc_u32 s17, s3, s17
	s_load_b32 s16, s[16:17], 0x0
	s_add_i32 s17, s10, 1
	s_waitcnt lgkmcnt(0)
	s_cmp_gt_i32 s16, s15
	s_cselect_b32 s14, s10, s14
	s_cselect_b32 s9, s9, s17
	s_delay_alu instid0(SALU_CYCLE_1)
	s_cmp_lt_u32 s9, s14
	s_cbranch_scc1 .LBB91_2
.LBB91_3:
	s_delay_alu instid0(VALU_DEP_1)
	s_min_u32 s0, s9, s8
	s_sub_i32 s1, s12, s9
	v_dual_mov_b32 v0, 0 :: v_dual_mov_b32 v1, s0
	v_mov_b32_e32 v2, s1
	s_clause 0x1
	global_store_b32 v0, v1, s[4:5]
	global_store_b32 v0, v2, s[6:7]
	s_nop 0
	s_sendmsg sendmsg(MSG_DEALLOC_VGPRS)
	s_endpgm
	.section	.rodata,"a",@progbits
	.p2align	6, 0x0
	.amdhsa_kernel _Z34thread_search_out_of_bounds_kernelIijN7rocprim17ROCPRIM_304000_NS7greaterIiEEEvPT_S5_PT0_S7_S6_S6_T1_
		.amdhsa_group_segment_fixed_size 0
		.amdhsa_private_segment_fixed_size 0
		.amdhsa_kernarg_size 44
		.amdhsa_user_sgpr_count 15
		.amdhsa_user_sgpr_dispatch_ptr 0
		.amdhsa_user_sgpr_queue_ptr 0
		.amdhsa_user_sgpr_kernarg_segment_ptr 1
		.amdhsa_user_sgpr_dispatch_id 0
		.amdhsa_user_sgpr_private_segment_size 0
		.amdhsa_wavefront_size32 1
		.amdhsa_uses_dynamic_stack 0
		.amdhsa_enable_private_segment 0
		.amdhsa_system_sgpr_workgroup_id_x 1
		.amdhsa_system_sgpr_workgroup_id_y 0
		.amdhsa_system_sgpr_workgroup_id_z 0
		.amdhsa_system_sgpr_workgroup_info 0
		.amdhsa_system_vgpr_workitem_id 0
		.amdhsa_next_free_vgpr 3
		.amdhsa_next_free_sgpr 20
		.amdhsa_reserve_vcc 1
		.amdhsa_float_round_mode_32 0
		.amdhsa_float_round_mode_16_64 0
		.amdhsa_float_denorm_mode_32 3
		.amdhsa_float_denorm_mode_16_64 3
		.amdhsa_dx10_clamp 1
		.amdhsa_ieee_mode 1
		.amdhsa_fp16_overflow 0
		.amdhsa_workgroup_processor_mode 1
		.amdhsa_memory_ordered 1
		.amdhsa_forward_progress 0
		.amdhsa_shared_vgpr_count 0
		.amdhsa_exception_fp_ieee_invalid_op 0
		.amdhsa_exception_fp_denorm_src 0
		.amdhsa_exception_fp_ieee_div_zero 0
		.amdhsa_exception_fp_ieee_overflow 0
		.amdhsa_exception_fp_ieee_underflow 0
		.amdhsa_exception_fp_ieee_inexact 0
		.amdhsa_exception_int_div_zero 0
	.end_amdhsa_kernel
	.section	.text._Z34thread_search_out_of_bounds_kernelIijN7rocprim17ROCPRIM_304000_NS7greaterIiEEEvPT_S5_PT0_S7_S6_S6_T1_,"axG",@progbits,_Z34thread_search_out_of_bounds_kernelIijN7rocprim17ROCPRIM_304000_NS7greaterIiEEEvPT_S5_PT0_S7_S6_S6_T1_,comdat
.Lfunc_end91:
	.size	_Z34thread_search_out_of_bounds_kernelIijN7rocprim17ROCPRIM_304000_NS7greaterIiEEEvPT_S5_PT0_S7_S6_S6_T1_, .Lfunc_end91-_Z34thread_search_out_of_bounds_kernelIijN7rocprim17ROCPRIM_304000_NS7greaterIiEEEvPT_S5_PT0_S7_S6_S6_T1_
                                        ; -- End function
	.section	.AMDGPU.csdata,"",@progbits
; Kernel info:
; codeLenInByte = 216
; NumSgprs: 22
; NumVgprs: 3
; ScratchSize: 0
; MemoryBound: 0
; FloatMode: 240
; IeeeMode: 1
; LDSByteSize: 0 bytes/workgroup (compile time only)
; SGPRBlocks: 2
; VGPRBlocks: 0
; NumSGPRsForWavesPerEU: 22
; NumVGPRsForWavesPerEU: 3
; Occupancy: 16
; WaveLimiterHint : 0
; COMPUTE_PGM_RSRC2:SCRATCH_EN: 0
; COMPUTE_PGM_RSRC2:USER_SGPR: 15
; COMPUTE_PGM_RSRC2:TRAP_HANDLER: 0
; COMPUTE_PGM_RSRC2:TGID_X_EN: 1
; COMPUTE_PGM_RSRC2:TGID_Y_EN: 0
; COMPUTE_PGM_RSRC2:TGID_Z_EN: 0
; COMPUTE_PGM_RSRC2:TIDIG_COMP_CNT: 0
	.section	.text._Z20thread_search_kernelImjN7rocprim17ROCPRIM_304000_NS4lessImEETnT0_Lj4EEvPT_S6_PS4_S7_S4_S4_T1_,"axG",@progbits,_Z20thread_search_kernelImjN7rocprim17ROCPRIM_304000_NS4lessImEETnT0_Lj4EEvPT_S6_PS4_S7_S4_S4_T1_,comdat
	.protected	_Z20thread_search_kernelImjN7rocprim17ROCPRIM_304000_NS4lessImEETnT0_Lj4EEvPT_S6_PS4_S7_S4_S4_T1_ ; -- Begin function _Z20thread_search_kernelImjN7rocprim17ROCPRIM_304000_NS4lessImEETnT0_Lj4EEvPT_S6_PS4_S7_S4_S4_T1_
	.globl	_Z20thread_search_kernelImjN7rocprim17ROCPRIM_304000_NS4lessImEETnT0_Lj4EEvPT_S6_PS4_S7_S4_S4_T1_
	.p2align	8
	.type	_Z20thread_search_kernelImjN7rocprim17ROCPRIM_304000_NS4lessImEETnT0_Lj4EEvPT_S6_PS4_S7_S4_S4_T1_,@function
_Z20thread_search_kernelImjN7rocprim17ROCPRIM_304000_NS4lessImEETnT0_Lj4EEvPT_S6_PS4_S7_S4_S4_T1_: ; @_Z20thread_search_kernelImjN7rocprim17ROCPRIM_304000_NS4lessImEETnT0_Lj4EEvPT_S6_PS4_S7_S4_S4_T1_
; %bb.0:
	s_clause 0x1
	s_load_b32 s2, s[0:1], 0x3c
	s_load_b64 s[8:9], s[0:1], 0x20
	s_waitcnt lgkmcnt(0)
	s_and_b32 s2, s2, 0xffff
	s_delay_alu instid0(SALU_CYCLE_1) | instskip(SKIP_1) | instid1(VALU_DEP_1)
	v_mad_u64_u32 v[1:2], null, s15, s2, v[0:1]
	s_load_b256 s[0:7], s[0:1], 0x0
	v_lshlrev_b32_e32 v0, 2, v1
	s_delay_alu instid0(VALU_DEP_1) | instskip(SKIP_2) | instid1(VALU_DEP_1)
	v_sub_nc_u32_e64 v4, v0, s9 clamp
	v_min_u32_e32 v5, s8, v0
	s_mov_b32 s9, exec_lo
	v_cmpx_lt_u32_e64 v4, v5
	s_cbranch_execz .LBB92_4
; %bb.1:
	v_mov_b32_e32 v3, 0
	s_mov_b32 s10, 0
	.p2align	6
.LBB92_2:                               ; =>This Inner Loop Header: Depth=1
	s_delay_alu instid0(VALU_DEP_1) | instskip(NEXT) | instid1(VALU_DEP_1)
	v_dual_mov_b32 v7, v3 :: v_dual_add_nc_u32 v2, v5, v4
	v_lshrrev_b32_e32 v2, 1, v2
	s_delay_alu instid0(VALU_DEP_1) | instskip(SKIP_1) | instid1(VALU_DEP_2)
	v_xad_u32 v6, v2, -1, v0
	v_lshlrev_b64 v[8:9], 3, v[2:3]
	v_lshlrev_b64 v[6:7], 3, v[6:7]
	s_waitcnt lgkmcnt(0)
	s_delay_alu instid0(VALU_DEP_2) | instskip(NEXT) | instid1(VALU_DEP_3)
	v_add_co_u32 v8, vcc_lo, s0, v8
	v_add_co_ci_u32_e32 v9, vcc_lo, s1, v9, vcc_lo
	s_delay_alu instid0(VALU_DEP_3) | instskip(NEXT) | instid1(VALU_DEP_4)
	v_add_co_u32 v6, vcc_lo, s2, v6
	v_add_co_ci_u32_e32 v7, vcc_lo, s3, v7, vcc_lo
	global_load_b64 v[8:9], v[8:9], off
	global_load_b64 v[6:7], v[6:7], off
	s_waitcnt vmcnt(0)
	v_cmp_lt_u64_e32 vcc_lo, v[6:7], v[8:9]
	v_add_nc_u32_e32 v6, 1, v2
	s_delay_alu instid0(VALU_DEP_1) | instskip(NEXT) | instid1(VALU_DEP_1)
	v_dual_cndmask_b32 v5, v5, v2 :: v_dual_cndmask_b32 v4, v6, v4
	v_cmp_ge_u32_e32 vcc_lo, v4, v5
	s_or_b32 s10, vcc_lo, s10
	s_delay_alu instid0(SALU_CYCLE_1)
	s_and_not1_b32 exec_lo, exec_lo, s10
	s_cbranch_execnz .LBB92_2
; %bb.3:
	s_or_b32 exec_lo, exec_lo, s10
.LBB92_4:
	s_delay_alu instid0(SALU_CYCLE_1) | instskip(SKIP_3) | instid1(VALU_DEP_3)
	s_or_b32 exec_lo, exec_lo, s9
	v_mov_b32_e32 v2, 0
	v_min_u32_e32 v5, s8, v4
	v_sub_nc_u32_e32 v6, v0, v4
	v_lshlrev_b64 v[1:2], 2, v[1:2]
	s_waitcnt lgkmcnt(0)
	s_delay_alu instid0(VALU_DEP_1) | instskip(NEXT) | instid1(VALU_DEP_2)
	v_add_co_u32 v3, vcc_lo, s4, v1
	v_add_co_ci_u32_e32 v4, vcc_lo, s5, v2, vcc_lo
	v_add_co_u32 v0, vcc_lo, s6, v1
	v_add_co_ci_u32_e32 v1, vcc_lo, s7, v2, vcc_lo
	global_store_b32 v[3:4], v5, off
	global_store_b32 v[0:1], v6, off
	s_nop 0
	s_sendmsg sendmsg(MSG_DEALLOC_VGPRS)
	s_endpgm
	.section	.rodata,"a",@progbits
	.p2align	6, 0x0
	.amdhsa_kernel _Z20thread_search_kernelImjN7rocprim17ROCPRIM_304000_NS4lessImEETnT0_Lj4EEvPT_S6_PS4_S7_S4_S4_T1_
		.amdhsa_group_segment_fixed_size 0
		.amdhsa_private_segment_fixed_size 0
		.amdhsa_kernarg_size 304
		.amdhsa_user_sgpr_count 15
		.amdhsa_user_sgpr_dispatch_ptr 0
		.amdhsa_user_sgpr_queue_ptr 0
		.amdhsa_user_sgpr_kernarg_segment_ptr 1
		.amdhsa_user_sgpr_dispatch_id 0
		.amdhsa_user_sgpr_private_segment_size 0
		.amdhsa_wavefront_size32 1
		.amdhsa_uses_dynamic_stack 0
		.amdhsa_enable_private_segment 0
		.amdhsa_system_sgpr_workgroup_id_x 1
		.amdhsa_system_sgpr_workgroup_id_y 0
		.amdhsa_system_sgpr_workgroup_id_z 0
		.amdhsa_system_sgpr_workgroup_info 0
		.amdhsa_system_vgpr_workitem_id 0
		.amdhsa_next_free_vgpr 10
		.amdhsa_next_free_sgpr 16
		.amdhsa_reserve_vcc 1
		.amdhsa_float_round_mode_32 0
		.amdhsa_float_round_mode_16_64 0
		.amdhsa_float_denorm_mode_32 3
		.amdhsa_float_denorm_mode_16_64 3
		.amdhsa_dx10_clamp 1
		.amdhsa_ieee_mode 1
		.amdhsa_fp16_overflow 0
		.amdhsa_workgroup_processor_mode 1
		.amdhsa_memory_ordered 1
		.amdhsa_forward_progress 0
		.amdhsa_shared_vgpr_count 0
		.amdhsa_exception_fp_ieee_invalid_op 0
		.amdhsa_exception_fp_denorm_src 0
		.amdhsa_exception_fp_ieee_div_zero 0
		.amdhsa_exception_fp_ieee_overflow 0
		.amdhsa_exception_fp_ieee_underflow 0
		.amdhsa_exception_fp_ieee_inexact 0
		.amdhsa_exception_int_div_zero 0
	.end_amdhsa_kernel
	.section	.text._Z20thread_search_kernelImjN7rocprim17ROCPRIM_304000_NS4lessImEETnT0_Lj4EEvPT_S6_PS4_S7_S4_S4_T1_,"axG",@progbits,_Z20thread_search_kernelImjN7rocprim17ROCPRIM_304000_NS4lessImEETnT0_Lj4EEvPT_S6_PS4_S7_S4_S4_T1_,comdat
.Lfunc_end92:
	.size	_Z20thread_search_kernelImjN7rocprim17ROCPRIM_304000_NS4lessImEETnT0_Lj4EEvPT_S6_PS4_S7_S4_S4_T1_, .Lfunc_end92-_Z20thread_search_kernelImjN7rocprim17ROCPRIM_304000_NS4lessImEETnT0_Lj4EEvPT_S6_PS4_S7_S4_S4_T1_
                                        ; -- End function
	.section	.AMDGPU.csdata,"",@progbits
; Kernel info:
; codeLenInByte = 328
; NumSgprs: 18
; NumVgprs: 10
; ScratchSize: 0
; MemoryBound: 0
; FloatMode: 240
; IeeeMode: 1
; LDSByteSize: 0 bytes/workgroup (compile time only)
; SGPRBlocks: 2
; VGPRBlocks: 1
; NumSGPRsForWavesPerEU: 18
; NumVGPRsForWavesPerEU: 10
; Occupancy: 16
; WaveLimiterHint : 0
; COMPUTE_PGM_RSRC2:SCRATCH_EN: 0
; COMPUTE_PGM_RSRC2:USER_SGPR: 15
; COMPUTE_PGM_RSRC2:TRAP_HANDLER: 0
; COMPUTE_PGM_RSRC2:TGID_X_EN: 1
; COMPUTE_PGM_RSRC2:TGID_Y_EN: 0
; COMPUTE_PGM_RSRC2:TGID_Z_EN: 0
; COMPUTE_PGM_RSRC2:TIDIG_COMP_CNT: 0
	.section	.text._Z34thread_search_out_of_bounds_kernelImjN7rocprim17ROCPRIM_304000_NS4lessImEEEvPT_S5_PT0_S7_S6_S6_T1_,"axG",@progbits,_Z34thread_search_out_of_bounds_kernelImjN7rocprim17ROCPRIM_304000_NS4lessImEEEvPT_S5_PT0_S7_S6_S6_T1_,comdat
	.protected	_Z34thread_search_out_of_bounds_kernelImjN7rocprim17ROCPRIM_304000_NS4lessImEEEvPT_S5_PT0_S7_S6_S6_T1_ ; -- Begin function _Z34thread_search_out_of_bounds_kernelImjN7rocprim17ROCPRIM_304000_NS4lessImEEEvPT_S5_PT0_S7_S6_S6_T1_
	.globl	_Z34thread_search_out_of_bounds_kernelImjN7rocprim17ROCPRIM_304000_NS4lessImEEEvPT_S5_PT0_S7_S6_S6_T1_
	.p2align	8
	.type	_Z34thread_search_out_of_bounds_kernelImjN7rocprim17ROCPRIM_304000_NS4lessImEEEvPT_S5_PT0_S7_S6_S6_T1_,@function
_Z34thread_search_out_of_bounds_kernelImjN7rocprim17ROCPRIM_304000_NS4lessImEEEvPT_S5_PT0_S7_S6_S6_T1_: ; @_Z34thread_search_out_of_bounds_kernelImjN7rocprim17ROCPRIM_304000_NS4lessImEEEvPT_S5_PT0_S7_S6_S6_T1_
; %bb.0:
	s_clause 0x1
	s_load_b64 s[8:9], s[0:1], 0x20
	s_load_b256 s[0:7], s[0:1], 0x0
	s_waitcnt lgkmcnt(0)
	s_add_i32 s13, s9, s8
	s_delay_alu instid0(SALU_CYCLE_1) | instskip(NEXT) | instid1(SALU_CYCLE_1)
	s_add_i32 s12, s13, 1
	v_sub_nc_u32_e64 v0, s12, s9 clamp
	s_min_u32 s14, s12, s8
	s_delay_alu instid0(VALU_DEP_1) | instid1(SALU_CYCLE_1)
	v_cmp_le_u32_e32 vcc_lo, s14, v0
	v_readfirstlane_b32 s9, v0
	s_cbranch_vccnz .LBB93_3
; %bb.1:
	s_mov_b32 s11, 0
	.p2align	6
.LBB93_2:                               ; =>This Inner Loop Header: Depth=1
	s_delay_alu instid0(VALU_DEP_1) | instskip(SKIP_2) | instid1(SALU_CYCLE_1)
	s_add_i32 s10, s14, s9
	s_mov_b32 s17, s11
	s_lshr_b32 s10, s10, 1
	s_lshl_b64 s[18:19], s[10:11], 3
	s_sub_i32 s16, s13, s10
	s_add_u32 s18, s0, s18
	s_addc_u32 s19, s1, s19
	s_lshl_b64 s[16:17], s[16:17], 3
	s_load_b64 s[18:19], s[18:19], 0x0
	s_add_u32 s16, s2, s16
	s_addc_u32 s17, s3, s17
	s_load_b64 s[16:17], s[16:17], 0x0
	s_waitcnt lgkmcnt(0)
	v_cmp_lt_u64_e64 s15, s[16:17], s[18:19]
	s_add_i32 s16, s10, 1
	s_delay_alu instid0(VALU_DEP_1) | instskip(SKIP_2) | instid1(SALU_CYCLE_1)
	s_and_b32 s15, s15, exec_lo
	s_cselect_b32 s14, s10, s14
	s_cselect_b32 s9, s9, s16
	s_cmp_lt_u32 s9, s14
	s_cbranch_scc1 .LBB93_2
.LBB93_3:
	s_delay_alu instid0(VALU_DEP_1)
	s_min_u32 s0, s9, s8
	s_sub_i32 s1, s12, s9
	v_dual_mov_b32 v0, 0 :: v_dual_mov_b32 v1, s0
	v_mov_b32_e32 v2, s1
	s_clause 0x1
	global_store_b32 v0, v1, s[4:5]
	global_store_b32 v0, v2, s[6:7]
	s_nop 0
	s_sendmsg sendmsg(MSG_DEALLOC_VGPRS)
	s_endpgm
	.section	.rodata,"a",@progbits
	.p2align	6, 0x0
	.amdhsa_kernel _Z34thread_search_out_of_bounds_kernelImjN7rocprim17ROCPRIM_304000_NS4lessImEEEvPT_S5_PT0_S7_S6_S6_T1_
		.amdhsa_group_segment_fixed_size 0
		.amdhsa_private_segment_fixed_size 0
		.amdhsa_kernarg_size 44
		.amdhsa_user_sgpr_count 15
		.amdhsa_user_sgpr_dispatch_ptr 0
		.amdhsa_user_sgpr_queue_ptr 0
		.amdhsa_user_sgpr_kernarg_segment_ptr 1
		.amdhsa_user_sgpr_dispatch_id 0
		.amdhsa_user_sgpr_private_segment_size 0
		.amdhsa_wavefront_size32 1
		.amdhsa_uses_dynamic_stack 0
		.amdhsa_enable_private_segment 0
		.amdhsa_system_sgpr_workgroup_id_x 1
		.amdhsa_system_sgpr_workgroup_id_y 0
		.amdhsa_system_sgpr_workgroup_id_z 0
		.amdhsa_system_sgpr_workgroup_info 0
		.amdhsa_system_vgpr_workitem_id 0
		.amdhsa_next_free_vgpr 3
		.amdhsa_next_free_sgpr 20
		.amdhsa_reserve_vcc 1
		.amdhsa_float_round_mode_32 0
		.amdhsa_float_round_mode_16_64 0
		.amdhsa_float_denorm_mode_32 3
		.amdhsa_float_denorm_mode_16_64 3
		.amdhsa_dx10_clamp 1
		.amdhsa_ieee_mode 1
		.amdhsa_fp16_overflow 0
		.amdhsa_workgroup_processor_mode 1
		.amdhsa_memory_ordered 1
		.amdhsa_forward_progress 0
		.amdhsa_shared_vgpr_count 0
		.amdhsa_exception_fp_ieee_invalid_op 0
		.amdhsa_exception_fp_denorm_src 0
		.amdhsa_exception_fp_ieee_div_zero 0
		.amdhsa_exception_fp_ieee_overflow 0
		.amdhsa_exception_fp_ieee_underflow 0
		.amdhsa_exception_fp_ieee_inexact 0
		.amdhsa_exception_int_div_zero 0
	.end_amdhsa_kernel
	.section	.text._Z34thread_search_out_of_bounds_kernelImjN7rocprim17ROCPRIM_304000_NS4lessImEEEvPT_S5_PT0_S7_S6_S6_T1_,"axG",@progbits,_Z34thread_search_out_of_bounds_kernelImjN7rocprim17ROCPRIM_304000_NS4lessImEEEvPT_S5_PT0_S7_S6_S6_T1_,comdat
.Lfunc_end93:
	.size	_Z34thread_search_out_of_bounds_kernelImjN7rocprim17ROCPRIM_304000_NS4lessImEEEvPT_S5_PT0_S7_S6_S6_T1_, .Lfunc_end93-_Z34thread_search_out_of_bounds_kernelImjN7rocprim17ROCPRIM_304000_NS4lessImEEEvPT_S5_PT0_S7_S6_S6_T1_
                                        ; -- End function
	.section	.AMDGPU.csdata,"",@progbits
; Kernel info:
; codeLenInByte = 224
; NumSgprs: 22
; NumVgprs: 3
; ScratchSize: 0
; MemoryBound: 0
; FloatMode: 240
; IeeeMode: 1
; LDSByteSize: 0 bytes/workgroup (compile time only)
; SGPRBlocks: 2
; VGPRBlocks: 0
; NumSGPRsForWavesPerEU: 22
; NumVGPRsForWavesPerEU: 3
; Occupancy: 16
; WaveLimiterHint : 0
; COMPUTE_PGM_RSRC2:SCRATCH_EN: 0
; COMPUTE_PGM_RSRC2:USER_SGPR: 15
; COMPUTE_PGM_RSRC2:TRAP_HANDLER: 0
; COMPUTE_PGM_RSRC2:TGID_X_EN: 1
; COMPUTE_PGM_RSRC2:TGID_Y_EN: 0
; COMPUTE_PGM_RSRC2:TGID_Z_EN: 0
; COMPUTE_PGM_RSRC2:TIDIG_COMP_CNT: 0
	.section	.text._Z20thread_search_kernelImjN7rocprim17ROCPRIM_304000_NS7greaterImEETnT0_Lj4EEvPT_S6_PS4_S7_S4_S4_T1_,"axG",@progbits,_Z20thread_search_kernelImjN7rocprim17ROCPRIM_304000_NS7greaterImEETnT0_Lj4EEvPT_S6_PS4_S7_S4_S4_T1_,comdat
	.protected	_Z20thread_search_kernelImjN7rocprim17ROCPRIM_304000_NS7greaterImEETnT0_Lj4EEvPT_S6_PS4_S7_S4_S4_T1_ ; -- Begin function _Z20thread_search_kernelImjN7rocprim17ROCPRIM_304000_NS7greaterImEETnT0_Lj4EEvPT_S6_PS4_S7_S4_S4_T1_
	.globl	_Z20thread_search_kernelImjN7rocprim17ROCPRIM_304000_NS7greaterImEETnT0_Lj4EEvPT_S6_PS4_S7_S4_S4_T1_
	.p2align	8
	.type	_Z20thread_search_kernelImjN7rocprim17ROCPRIM_304000_NS7greaterImEETnT0_Lj4EEvPT_S6_PS4_S7_S4_S4_T1_,@function
_Z20thread_search_kernelImjN7rocprim17ROCPRIM_304000_NS7greaterImEETnT0_Lj4EEvPT_S6_PS4_S7_S4_S4_T1_: ; @_Z20thread_search_kernelImjN7rocprim17ROCPRIM_304000_NS7greaterImEETnT0_Lj4EEvPT_S6_PS4_S7_S4_S4_T1_
; %bb.0:
	s_clause 0x1
	s_load_b32 s2, s[0:1], 0x3c
	s_load_b64 s[8:9], s[0:1], 0x20
	s_waitcnt lgkmcnt(0)
	s_and_b32 s2, s2, 0xffff
	s_delay_alu instid0(SALU_CYCLE_1) | instskip(SKIP_1) | instid1(VALU_DEP_1)
	v_mad_u64_u32 v[1:2], null, s15, s2, v[0:1]
	s_load_b256 s[0:7], s[0:1], 0x0
	v_lshlrev_b32_e32 v0, 2, v1
	s_delay_alu instid0(VALU_DEP_1) | instskip(SKIP_2) | instid1(VALU_DEP_1)
	v_sub_nc_u32_e64 v4, v0, s9 clamp
	v_min_u32_e32 v5, s8, v0
	s_mov_b32 s9, exec_lo
	v_cmpx_lt_u32_e64 v4, v5
	s_cbranch_execz .LBB94_4
; %bb.1:
	v_mov_b32_e32 v3, 0
	s_mov_b32 s10, 0
	.p2align	6
.LBB94_2:                               ; =>This Inner Loop Header: Depth=1
	s_delay_alu instid0(VALU_DEP_1) | instskip(NEXT) | instid1(VALU_DEP_1)
	v_dual_mov_b32 v7, v3 :: v_dual_add_nc_u32 v2, v5, v4
	v_lshrrev_b32_e32 v2, 1, v2
	s_delay_alu instid0(VALU_DEP_1) | instskip(SKIP_1) | instid1(VALU_DEP_2)
	v_xad_u32 v6, v2, -1, v0
	v_lshlrev_b64 v[8:9], 3, v[2:3]
	v_lshlrev_b64 v[6:7], 3, v[6:7]
	s_waitcnt lgkmcnt(0)
	s_delay_alu instid0(VALU_DEP_2) | instskip(NEXT) | instid1(VALU_DEP_3)
	v_add_co_u32 v8, vcc_lo, s0, v8
	v_add_co_ci_u32_e32 v9, vcc_lo, s1, v9, vcc_lo
	s_delay_alu instid0(VALU_DEP_3) | instskip(NEXT) | instid1(VALU_DEP_4)
	v_add_co_u32 v6, vcc_lo, s2, v6
	v_add_co_ci_u32_e32 v7, vcc_lo, s3, v7, vcc_lo
	global_load_b64 v[8:9], v[8:9], off
	global_load_b64 v[6:7], v[6:7], off
	s_waitcnt vmcnt(0)
	v_cmp_gt_u64_e32 vcc_lo, v[6:7], v[8:9]
	v_add_nc_u32_e32 v6, 1, v2
	s_delay_alu instid0(VALU_DEP_1) | instskip(NEXT) | instid1(VALU_DEP_1)
	v_dual_cndmask_b32 v5, v5, v2 :: v_dual_cndmask_b32 v4, v6, v4
	v_cmp_ge_u32_e32 vcc_lo, v4, v5
	s_or_b32 s10, vcc_lo, s10
	s_delay_alu instid0(SALU_CYCLE_1)
	s_and_not1_b32 exec_lo, exec_lo, s10
	s_cbranch_execnz .LBB94_2
; %bb.3:
	s_or_b32 exec_lo, exec_lo, s10
.LBB94_4:
	s_delay_alu instid0(SALU_CYCLE_1) | instskip(SKIP_3) | instid1(VALU_DEP_3)
	s_or_b32 exec_lo, exec_lo, s9
	v_mov_b32_e32 v2, 0
	v_min_u32_e32 v5, s8, v4
	v_sub_nc_u32_e32 v6, v0, v4
	v_lshlrev_b64 v[1:2], 2, v[1:2]
	s_waitcnt lgkmcnt(0)
	s_delay_alu instid0(VALU_DEP_1) | instskip(NEXT) | instid1(VALU_DEP_2)
	v_add_co_u32 v3, vcc_lo, s4, v1
	v_add_co_ci_u32_e32 v4, vcc_lo, s5, v2, vcc_lo
	v_add_co_u32 v0, vcc_lo, s6, v1
	v_add_co_ci_u32_e32 v1, vcc_lo, s7, v2, vcc_lo
	global_store_b32 v[3:4], v5, off
	global_store_b32 v[0:1], v6, off
	s_nop 0
	s_sendmsg sendmsg(MSG_DEALLOC_VGPRS)
	s_endpgm
	.section	.rodata,"a",@progbits
	.p2align	6, 0x0
	.amdhsa_kernel _Z20thread_search_kernelImjN7rocprim17ROCPRIM_304000_NS7greaterImEETnT0_Lj4EEvPT_S6_PS4_S7_S4_S4_T1_
		.amdhsa_group_segment_fixed_size 0
		.amdhsa_private_segment_fixed_size 0
		.amdhsa_kernarg_size 304
		.amdhsa_user_sgpr_count 15
		.amdhsa_user_sgpr_dispatch_ptr 0
		.amdhsa_user_sgpr_queue_ptr 0
		.amdhsa_user_sgpr_kernarg_segment_ptr 1
		.amdhsa_user_sgpr_dispatch_id 0
		.amdhsa_user_sgpr_private_segment_size 0
		.amdhsa_wavefront_size32 1
		.amdhsa_uses_dynamic_stack 0
		.amdhsa_enable_private_segment 0
		.amdhsa_system_sgpr_workgroup_id_x 1
		.amdhsa_system_sgpr_workgroup_id_y 0
		.amdhsa_system_sgpr_workgroup_id_z 0
		.amdhsa_system_sgpr_workgroup_info 0
		.amdhsa_system_vgpr_workitem_id 0
		.amdhsa_next_free_vgpr 10
		.amdhsa_next_free_sgpr 16
		.amdhsa_reserve_vcc 1
		.amdhsa_float_round_mode_32 0
		.amdhsa_float_round_mode_16_64 0
		.amdhsa_float_denorm_mode_32 3
		.amdhsa_float_denorm_mode_16_64 3
		.amdhsa_dx10_clamp 1
		.amdhsa_ieee_mode 1
		.amdhsa_fp16_overflow 0
		.amdhsa_workgroup_processor_mode 1
		.amdhsa_memory_ordered 1
		.amdhsa_forward_progress 0
		.amdhsa_shared_vgpr_count 0
		.amdhsa_exception_fp_ieee_invalid_op 0
		.amdhsa_exception_fp_denorm_src 0
		.amdhsa_exception_fp_ieee_div_zero 0
		.amdhsa_exception_fp_ieee_overflow 0
		.amdhsa_exception_fp_ieee_underflow 0
		.amdhsa_exception_fp_ieee_inexact 0
		.amdhsa_exception_int_div_zero 0
	.end_amdhsa_kernel
	.section	.text._Z20thread_search_kernelImjN7rocprim17ROCPRIM_304000_NS7greaterImEETnT0_Lj4EEvPT_S6_PS4_S7_S4_S4_T1_,"axG",@progbits,_Z20thread_search_kernelImjN7rocprim17ROCPRIM_304000_NS7greaterImEETnT0_Lj4EEvPT_S6_PS4_S7_S4_S4_T1_,comdat
.Lfunc_end94:
	.size	_Z20thread_search_kernelImjN7rocprim17ROCPRIM_304000_NS7greaterImEETnT0_Lj4EEvPT_S6_PS4_S7_S4_S4_T1_, .Lfunc_end94-_Z20thread_search_kernelImjN7rocprim17ROCPRIM_304000_NS7greaterImEETnT0_Lj4EEvPT_S6_PS4_S7_S4_S4_T1_
                                        ; -- End function
	.section	.AMDGPU.csdata,"",@progbits
; Kernel info:
; codeLenInByte = 328
; NumSgprs: 18
; NumVgprs: 10
; ScratchSize: 0
; MemoryBound: 0
; FloatMode: 240
; IeeeMode: 1
; LDSByteSize: 0 bytes/workgroup (compile time only)
; SGPRBlocks: 2
; VGPRBlocks: 1
; NumSGPRsForWavesPerEU: 18
; NumVGPRsForWavesPerEU: 10
; Occupancy: 16
; WaveLimiterHint : 0
; COMPUTE_PGM_RSRC2:SCRATCH_EN: 0
; COMPUTE_PGM_RSRC2:USER_SGPR: 15
; COMPUTE_PGM_RSRC2:TRAP_HANDLER: 0
; COMPUTE_PGM_RSRC2:TGID_X_EN: 1
; COMPUTE_PGM_RSRC2:TGID_Y_EN: 0
; COMPUTE_PGM_RSRC2:TGID_Z_EN: 0
; COMPUTE_PGM_RSRC2:TIDIG_COMP_CNT: 0
	.section	.text._Z34thread_search_out_of_bounds_kernelImjN7rocprim17ROCPRIM_304000_NS7greaterImEEEvPT_S5_PT0_S7_S6_S6_T1_,"axG",@progbits,_Z34thread_search_out_of_bounds_kernelImjN7rocprim17ROCPRIM_304000_NS7greaterImEEEvPT_S5_PT0_S7_S6_S6_T1_,comdat
	.protected	_Z34thread_search_out_of_bounds_kernelImjN7rocprim17ROCPRIM_304000_NS7greaterImEEEvPT_S5_PT0_S7_S6_S6_T1_ ; -- Begin function _Z34thread_search_out_of_bounds_kernelImjN7rocprim17ROCPRIM_304000_NS7greaterImEEEvPT_S5_PT0_S7_S6_S6_T1_
	.globl	_Z34thread_search_out_of_bounds_kernelImjN7rocprim17ROCPRIM_304000_NS7greaterImEEEvPT_S5_PT0_S7_S6_S6_T1_
	.p2align	8
	.type	_Z34thread_search_out_of_bounds_kernelImjN7rocprim17ROCPRIM_304000_NS7greaterImEEEvPT_S5_PT0_S7_S6_S6_T1_,@function
_Z34thread_search_out_of_bounds_kernelImjN7rocprim17ROCPRIM_304000_NS7greaterImEEEvPT_S5_PT0_S7_S6_S6_T1_: ; @_Z34thread_search_out_of_bounds_kernelImjN7rocprim17ROCPRIM_304000_NS7greaterImEEEvPT_S5_PT0_S7_S6_S6_T1_
; %bb.0:
	s_clause 0x1
	s_load_b64 s[8:9], s[0:1], 0x20
	s_load_b256 s[0:7], s[0:1], 0x0
	s_waitcnt lgkmcnt(0)
	s_add_i32 s13, s9, s8
	s_delay_alu instid0(SALU_CYCLE_1) | instskip(NEXT) | instid1(SALU_CYCLE_1)
	s_add_i32 s12, s13, 1
	v_sub_nc_u32_e64 v0, s12, s9 clamp
	s_min_u32 s14, s12, s8
	s_delay_alu instid0(VALU_DEP_1) | instid1(SALU_CYCLE_1)
	v_cmp_le_u32_e32 vcc_lo, s14, v0
	v_readfirstlane_b32 s9, v0
	s_cbranch_vccnz .LBB95_3
; %bb.1:
	s_mov_b32 s11, 0
	.p2align	6
.LBB95_2:                               ; =>This Inner Loop Header: Depth=1
	s_delay_alu instid0(VALU_DEP_1) | instskip(SKIP_2) | instid1(SALU_CYCLE_1)
	s_add_i32 s10, s14, s9
	s_mov_b32 s17, s11
	s_lshr_b32 s10, s10, 1
	s_lshl_b64 s[18:19], s[10:11], 3
	s_sub_i32 s16, s13, s10
	s_add_u32 s18, s0, s18
	s_addc_u32 s19, s1, s19
	s_lshl_b64 s[16:17], s[16:17], 3
	s_load_b64 s[18:19], s[18:19], 0x0
	s_add_u32 s16, s2, s16
	s_addc_u32 s17, s3, s17
	s_load_b64 s[16:17], s[16:17], 0x0
	s_waitcnt lgkmcnt(0)
	v_cmp_gt_u64_e64 s15, s[16:17], s[18:19]
	s_add_i32 s16, s10, 1
	s_delay_alu instid0(VALU_DEP_1) | instskip(SKIP_2) | instid1(SALU_CYCLE_1)
	s_and_b32 s15, s15, exec_lo
	s_cselect_b32 s14, s10, s14
	s_cselect_b32 s9, s9, s16
	s_cmp_lt_u32 s9, s14
	s_cbranch_scc1 .LBB95_2
.LBB95_3:
	s_delay_alu instid0(VALU_DEP_1)
	s_min_u32 s0, s9, s8
	s_sub_i32 s1, s12, s9
	v_dual_mov_b32 v0, 0 :: v_dual_mov_b32 v1, s0
	v_mov_b32_e32 v2, s1
	s_clause 0x1
	global_store_b32 v0, v1, s[4:5]
	global_store_b32 v0, v2, s[6:7]
	s_nop 0
	s_sendmsg sendmsg(MSG_DEALLOC_VGPRS)
	s_endpgm
	.section	.rodata,"a",@progbits
	.p2align	6, 0x0
	.amdhsa_kernel _Z34thread_search_out_of_bounds_kernelImjN7rocprim17ROCPRIM_304000_NS7greaterImEEEvPT_S5_PT0_S7_S6_S6_T1_
		.amdhsa_group_segment_fixed_size 0
		.amdhsa_private_segment_fixed_size 0
		.amdhsa_kernarg_size 44
		.amdhsa_user_sgpr_count 15
		.amdhsa_user_sgpr_dispatch_ptr 0
		.amdhsa_user_sgpr_queue_ptr 0
		.amdhsa_user_sgpr_kernarg_segment_ptr 1
		.amdhsa_user_sgpr_dispatch_id 0
		.amdhsa_user_sgpr_private_segment_size 0
		.amdhsa_wavefront_size32 1
		.amdhsa_uses_dynamic_stack 0
		.amdhsa_enable_private_segment 0
		.amdhsa_system_sgpr_workgroup_id_x 1
		.amdhsa_system_sgpr_workgroup_id_y 0
		.amdhsa_system_sgpr_workgroup_id_z 0
		.amdhsa_system_sgpr_workgroup_info 0
		.amdhsa_system_vgpr_workitem_id 0
		.amdhsa_next_free_vgpr 3
		.amdhsa_next_free_sgpr 20
		.amdhsa_reserve_vcc 1
		.amdhsa_float_round_mode_32 0
		.amdhsa_float_round_mode_16_64 0
		.amdhsa_float_denorm_mode_32 3
		.amdhsa_float_denorm_mode_16_64 3
		.amdhsa_dx10_clamp 1
		.amdhsa_ieee_mode 1
		.amdhsa_fp16_overflow 0
		.amdhsa_workgroup_processor_mode 1
		.amdhsa_memory_ordered 1
		.amdhsa_forward_progress 0
		.amdhsa_shared_vgpr_count 0
		.amdhsa_exception_fp_ieee_invalid_op 0
		.amdhsa_exception_fp_denorm_src 0
		.amdhsa_exception_fp_ieee_div_zero 0
		.amdhsa_exception_fp_ieee_overflow 0
		.amdhsa_exception_fp_ieee_underflow 0
		.amdhsa_exception_fp_ieee_inexact 0
		.amdhsa_exception_int_div_zero 0
	.end_amdhsa_kernel
	.section	.text._Z34thread_search_out_of_bounds_kernelImjN7rocprim17ROCPRIM_304000_NS7greaterImEEEvPT_S5_PT0_S7_S6_S6_T1_,"axG",@progbits,_Z34thread_search_out_of_bounds_kernelImjN7rocprim17ROCPRIM_304000_NS7greaterImEEEvPT_S5_PT0_S7_S6_S6_T1_,comdat
.Lfunc_end95:
	.size	_Z34thread_search_out_of_bounds_kernelImjN7rocprim17ROCPRIM_304000_NS7greaterImEEEvPT_S5_PT0_S7_S6_S6_T1_, .Lfunc_end95-_Z34thread_search_out_of_bounds_kernelImjN7rocprim17ROCPRIM_304000_NS7greaterImEEEvPT_S5_PT0_S7_S6_S6_T1_
                                        ; -- End function
	.section	.AMDGPU.csdata,"",@progbits
; Kernel info:
; codeLenInByte = 224
; NumSgprs: 22
; NumVgprs: 3
; ScratchSize: 0
; MemoryBound: 0
; FloatMode: 240
; IeeeMode: 1
; LDSByteSize: 0 bytes/workgroup (compile time only)
; SGPRBlocks: 2
; VGPRBlocks: 0
; NumSGPRsForWavesPerEU: 22
; NumVGPRsForWavesPerEU: 3
; Occupancy: 16
; WaveLimiterHint : 0
; COMPUTE_PGM_RSRC2:SCRATCH_EN: 0
; COMPUTE_PGM_RSRC2:USER_SGPR: 15
; COMPUTE_PGM_RSRC2:TRAP_HANDLER: 0
; COMPUTE_PGM_RSRC2:TGID_X_EN: 1
; COMPUTE_PGM_RSRC2:TGID_Y_EN: 0
; COMPUTE_PGM_RSRC2:TGID_Z_EN: 0
; COMPUTE_PGM_RSRC2:TIDIG_COMP_CNT: 0
	.section	.text._Z20thread_search_kernelIjjN7rocprim17ROCPRIM_304000_NS4lessIjEETnT0_Lj4EEvPT_S6_PS4_S7_S4_S4_T1_,"axG",@progbits,_Z20thread_search_kernelIjjN7rocprim17ROCPRIM_304000_NS4lessIjEETnT0_Lj4EEvPT_S6_PS4_S7_S4_S4_T1_,comdat
	.protected	_Z20thread_search_kernelIjjN7rocprim17ROCPRIM_304000_NS4lessIjEETnT0_Lj4EEvPT_S6_PS4_S7_S4_S4_T1_ ; -- Begin function _Z20thread_search_kernelIjjN7rocprim17ROCPRIM_304000_NS4lessIjEETnT0_Lj4EEvPT_S6_PS4_S7_S4_S4_T1_
	.globl	_Z20thread_search_kernelIjjN7rocprim17ROCPRIM_304000_NS4lessIjEETnT0_Lj4EEvPT_S6_PS4_S7_S4_S4_T1_
	.p2align	8
	.type	_Z20thread_search_kernelIjjN7rocprim17ROCPRIM_304000_NS4lessIjEETnT0_Lj4EEvPT_S6_PS4_S7_S4_S4_T1_,@function
_Z20thread_search_kernelIjjN7rocprim17ROCPRIM_304000_NS4lessIjEETnT0_Lj4EEvPT_S6_PS4_S7_S4_S4_T1_: ; @_Z20thread_search_kernelIjjN7rocprim17ROCPRIM_304000_NS4lessIjEETnT0_Lj4EEvPT_S6_PS4_S7_S4_S4_T1_
; %bb.0:
	s_clause 0x1
	s_load_b32 s2, s[0:1], 0x3c
	s_load_b64 s[8:9], s[0:1], 0x20
	s_waitcnt lgkmcnt(0)
	s_and_b32 s2, s2, 0xffff
	s_delay_alu instid0(SALU_CYCLE_1) | instskip(SKIP_1) | instid1(VALU_DEP_1)
	v_mad_u64_u32 v[1:2], null, s15, s2, v[0:1]
	s_load_b256 s[0:7], s[0:1], 0x0
	v_lshlrev_b32_e32 v0, 2, v1
	s_delay_alu instid0(VALU_DEP_1) | instskip(SKIP_2) | instid1(VALU_DEP_1)
	v_sub_nc_u32_e64 v4, v0, s9 clamp
	v_min_u32_e32 v5, s8, v0
	s_mov_b32 s9, exec_lo
	v_cmpx_lt_u32_e64 v4, v5
	s_cbranch_execz .LBB96_4
; %bb.1:
	v_mov_b32_e32 v3, 0
	s_mov_b32 s10, 0
	.p2align	6
.LBB96_2:                               ; =>This Inner Loop Header: Depth=1
	s_delay_alu instid0(VALU_DEP_1) | instskip(NEXT) | instid1(VALU_DEP_1)
	v_dual_mov_b32 v7, v3 :: v_dual_add_nc_u32 v2, v5, v4
	v_lshrrev_b32_e32 v2, 1, v2
	s_delay_alu instid0(VALU_DEP_1) | instskip(SKIP_1) | instid1(VALU_DEP_2)
	v_xad_u32 v6, v2, -1, v0
	v_lshlrev_b64 v[8:9], 2, v[2:3]
	v_lshlrev_b64 v[6:7], 2, v[6:7]
	s_waitcnt lgkmcnt(0)
	s_delay_alu instid0(VALU_DEP_2) | instskip(NEXT) | instid1(VALU_DEP_3)
	v_add_co_u32 v8, vcc_lo, s0, v8
	v_add_co_ci_u32_e32 v9, vcc_lo, s1, v9, vcc_lo
	s_delay_alu instid0(VALU_DEP_3) | instskip(NEXT) | instid1(VALU_DEP_4)
	v_add_co_u32 v6, vcc_lo, s2, v6
	v_add_co_ci_u32_e32 v7, vcc_lo, s3, v7, vcc_lo
	global_load_b32 v8, v[8:9], off
	global_load_b32 v6, v[6:7], off
	v_add_nc_u32_e32 v7, 1, v2
	s_waitcnt vmcnt(0)
	v_cmp_lt_u32_e32 vcc_lo, v6, v8
	s_delay_alu instid0(VALU_DEP_2) | instskip(NEXT) | instid1(VALU_DEP_1)
	v_dual_cndmask_b32 v5, v5, v2 :: v_dual_cndmask_b32 v4, v7, v4
	v_cmp_ge_u32_e32 vcc_lo, v4, v5
	s_or_b32 s10, vcc_lo, s10
	s_delay_alu instid0(SALU_CYCLE_1)
	s_and_not1_b32 exec_lo, exec_lo, s10
	s_cbranch_execnz .LBB96_2
; %bb.3:
	s_or_b32 exec_lo, exec_lo, s10
.LBB96_4:
	s_delay_alu instid0(SALU_CYCLE_1) | instskip(SKIP_3) | instid1(VALU_DEP_3)
	s_or_b32 exec_lo, exec_lo, s9
	v_mov_b32_e32 v2, 0
	v_min_u32_e32 v5, s8, v4
	v_sub_nc_u32_e32 v6, v0, v4
	v_lshlrev_b64 v[1:2], 2, v[1:2]
	s_waitcnt lgkmcnt(0)
	s_delay_alu instid0(VALU_DEP_1) | instskip(NEXT) | instid1(VALU_DEP_2)
	v_add_co_u32 v3, vcc_lo, s4, v1
	v_add_co_ci_u32_e32 v4, vcc_lo, s5, v2, vcc_lo
	v_add_co_u32 v0, vcc_lo, s6, v1
	v_add_co_ci_u32_e32 v1, vcc_lo, s7, v2, vcc_lo
	global_store_b32 v[3:4], v5, off
	global_store_b32 v[0:1], v6, off
	s_nop 0
	s_sendmsg sendmsg(MSG_DEALLOC_VGPRS)
	s_endpgm
	.section	.rodata,"a",@progbits
	.p2align	6, 0x0
	.amdhsa_kernel _Z20thread_search_kernelIjjN7rocprim17ROCPRIM_304000_NS4lessIjEETnT0_Lj4EEvPT_S6_PS4_S7_S4_S4_T1_
		.amdhsa_group_segment_fixed_size 0
		.amdhsa_private_segment_fixed_size 0
		.amdhsa_kernarg_size 304
		.amdhsa_user_sgpr_count 15
		.amdhsa_user_sgpr_dispatch_ptr 0
		.amdhsa_user_sgpr_queue_ptr 0
		.amdhsa_user_sgpr_kernarg_segment_ptr 1
		.amdhsa_user_sgpr_dispatch_id 0
		.amdhsa_user_sgpr_private_segment_size 0
		.amdhsa_wavefront_size32 1
		.amdhsa_uses_dynamic_stack 0
		.amdhsa_enable_private_segment 0
		.amdhsa_system_sgpr_workgroup_id_x 1
		.amdhsa_system_sgpr_workgroup_id_y 0
		.amdhsa_system_sgpr_workgroup_id_z 0
		.amdhsa_system_sgpr_workgroup_info 0
		.amdhsa_system_vgpr_workitem_id 0
		.amdhsa_next_free_vgpr 10
		.amdhsa_next_free_sgpr 16
		.amdhsa_reserve_vcc 1
		.amdhsa_float_round_mode_32 0
		.amdhsa_float_round_mode_16_64 0
		.amdhsa_float_denorm_mode_32 3
		.amdhsa_float_denorm_mode_16_64 3
		.amdhsa_dx10_clamp 1
		.amdhsa_ieee_mode 1
		.amdhsa_fp16_overflow 0
		.amdhsa_workgroup_processor_mode 1
		.amdhsa_memory_ordered 1
		.amdhsa_forward_progress 0
		.amdhsa_shared_vgpr_count 0
		.amdhsa_exception_fp_ieee_invalid_op 0
		.amdhsa_exception_fp_denorm_src 0
		.amdhsa_exception_fp_ieee_div_zero 0
		.amdhsa_exception_fp_ieee_overflow 0
		.amdhsa_exception_fp_ieee_underflow 0
		.amdhsa_exception_fp_ieee_inexact 0
		.amdhsa_exception_int_div_zero 0
	.end_amdhsa_kernel
	.section	.text._Z20thread_search_kernelIjjN7rocprim17ROCPRIM_304000_NS4lessIjEETnT0_Lj4EEvPT_S6_PS4_S7_S4_S4_T1_,"axG",@progbits,_Z20thread_search_kernelIjjN7rocprim17ROCPRIM_304000_NS4lessIjEETnT0_Lj4EEvPT_S6_PS4_S7_S4_S4_T1_,comdat
.Lfunc_end96:
	.size	_Z20thread_search_kernelIjjN7rocprim17ROCPRIM_304000_NS4lessIjEETnT0_Lj4EEvPT_S6_PS4_S7_S4_S4_T1_, .Lfunc_end96-_Z20thread_search_kernelIjjN7rocprim17ROCPRIM_304000_NS4lessIjEETnT0_Lj4EEvPT_S6_PS4_S7_S4_S4_T1_
                                        ; -- End function
	.section	.AMDGPU.csdata,"",@progbits
; Kernel info:
; codeLenInByte = 328
; NumSgprs: 18
; NumVgprs: 10
; ScratchSize: 0
; MemoryBound: 0
; FloatMode: 240
; IeeeMode: 1
; LDSByteSize: 0 bytes/workgroup (compile time only)
; SGPRBlocks: 2
; VGPRBlocks: 1
; NumSGPRsForWavesPerEU: 18
; NumVGPRsForWavesPerEU: 10
; Occupancy: 16
; WaveLimiterHint : 0
; COMPUTE_PGM_RSRC2:SCRATCH_EN: 0
; COMPUTE_PGM_RSRC2:USER_SGPR: 15
; COMPUTE_PGM_RSRC2:TRAP_HANDLER: 0
; COMPUTE_PGM_RSRC2:TGID_X_EN: 1
; COMPUTE_PGM_RSRC2:TGID_Y_EN: 0
; COMPUTE_PGM_RSRC2:TGID_Z_EN: 0
; COMPUTE_PGM_RSRC2:TIDIG_COMP_CNT: 0
	.section	.text._Z34thread_search_out_of_bounds_kernelIjjN7rocprim17ROCPRIM_304000_NS4lessIjEEEvPT_S5_PT0_S7_S6_S6_T1_,"axG",@progbits,_Z34thread_search_out_of_bounds_kernelIjjN7rocprim17ROCPRIM_304000_NS4lessIjEEEvPT_S5_PT0_S7_S6_S6_T1_,comdat
	.protected	_Z34thread_search_out_of_bounds_kernelIjjN7rocprim17ROCPRIM_304000_NS4lessIjEEEvPT_S5_PT0_S7_S6_S6_T1_ ; -- Begin function _Z34thread_search_out_of_bounds_kernelIjjN7rocprim17ROCPRIM_304000_NS4lessIjEEEvPT_S5_PT0_S7_S6_S6_T1_
	.globl	_Z34thread_search_out_of_bounds_kernelIjjN7rocprim17ROCPRIM_304000_NS4lessIjEEEvPT_S5_PT0_S7_S6_S6_T1_
	.p2align	8
	.type	_Z34thread_search_out_of_bounds_kernelIjjN7rocprim17ROCPRIM_304000_NS4lessIjEEEvPT_S5_PT0_S7_S6_S6_T1_,@function
_Z34thread_search_out_of_bounds_kernelIjjN7rocprim17ROCPRIM_304000_NS4lessIjEEEvPT_S5_PT0_S7_S6_S6_T1_: ; @_Z34thread_search_out_of_bounds_kernelIjjN7rocprim17ROCPRIM_304000_NS4lessIjEEEvPT_S5_PT0_S7_S6_S6_T1_
; %bb.0:
	s_clause 0x1
	s_load_b64 s[8:9], s[0:1], 0x20
	s_load_b256 s[0:7], s[0:1], 0x0
	s_waitcnt lgkmcnt(0)
	s_add_i32 s13, s9, s8
	s_delay_alu instid0(SALU_CYCLE_1) | instskip(NEXT) | instid1(SALU_CYCLE_1)
	s_add_i32 s12, s13, 1
	v_sub_nc_u32_e64 v0, s12, s9 clamp
	s_min_u32 s14, s12, s8
	s_delay_alu instid0(VALU_DEP_1) | instid1(SALU_CYCLE_1)
	v_cmp_le_u32_e32 vcc_lo, s14, v0
	v_readfirstlane_b32 s9, v0
	s_cbranch_vccnz .LBB97_3
; %bb.1:
	s_mov_b32 s11, 0
	.p2align	6
.LBB97_2:                               ; =>This Inner Loop Header: Depth=1
	s_delay_alu instid0(VALU_DEP_1) | instskip(SKIP_2) | instid1(SALU_CYCLE_1)
	s_add_i32 s10, s14, s9
	s_mov_b32 s17, s11
	s_lshr_b32 s10, s10, 1
	s_lshl_b64 s[18:19], s[10:11], 2
	s_sub_i32 s16, s13, s10
	s_add_u32 s18, s0, s18
	s_addc_u32 s19, s1, s19
	s_lshl_b64 s[16:17], s[16:17], 2
	s_load_b32 s15, s[18:19], 0x0
	s_add_u32 s16, s2, s16
	s_addc_u32 s17, s3, s17
	s_load_b32 s16, s[16:17], 0x0
	s_add_i32 s17, s10, 1
	s_waitcnt lgkmcnt(0)
	s_cmp_lt_u32 s16, s15
	s_cselect_b32 s14, s10, s14
	s_cselect_b32 s9, s9, s17
	s_delay_alu instid0(SALU_CYCLE_1)
	s_cmp_lt_u32 s9, s14
	s_cbranch_scc1 .LBB97_2
.LBB97_3:
	s_delay_alu instid0(VALU_DEP_1)
	s_min_u32 s0, s9, s8
	s_sub_i32 s1, s12, s9
	v_dual_mov_b32 v0, 0 :: v_dual_mov_b32 v1, s0
	v_mov_b32_e32 v2, s1
	s_clause 0x1
	global_store_b32 v0, v1, s[4:5]
	global_store_b32 v0, v2, s[6:7]
	s_nop 0
	s_sendmsg sendmsg(MSG_DEALLOC_VGPRS)
	s_endpgm
	.section	.rodata,"a",@progbits
	.p2align	6, 0x0
	.amdhsa_kernel _Z34thread_search_out_of_bounds_kernelIjjN7rocprim17ROCPRIM_304000_NS4lessIjEEEvPT_S5_PT0_S7_S6_S6_T1_
		.amdhsa_group_segment_fixed_size 0
		.amdhsa_private_segment_fixed_size 0
		.amdhsa_kernarg_size 44
		.amdhsa_user_sgpr_count 15
		.amdhsa_user_sgpr_dispatch_ptr 0
		.amdhsa_user_sgpr_queue_ptr 0
		.amdhsa_user_sgpr_kernarg_segment_ptr 1
		.amdhsa_user_sgpr_dispatch_id 0
		.amdhsa_user_sgpr_private_segment_size 0
		.amdhsa_wavefront_size32 1
		.amdhsa_uses_dynamic_stack 0
		.amdhsa_enable_private_segment 0
		.amdhsa_system_sgpr_workgroup_id_x 1
		.amdhsa_system_sgpr_workgroup_id_y 0
		.amdhsa_system_sgpr_workgroup_id_z 0
		.amdhsa_system_sgpr_workgroup_info 0
		.amdhsa_system_vgpr_workitem_id 0
		.amdhsa_next_free_vgpr 3
		.amdhsa_next_free_sgpr 20
		.amdhsa_reserve_vcc 1
		.amdhsa_float_round_mode_32 0
		.amdhsa_float_round_mode_16_64 0
		.amdhsa_float_denorm_mode_32 3
		.amdhsa_float_denorm_mode_16_64 3
		.amdhsa_dx10_clamp 1
		.amdhsa_ieee_mode 1
		.amdhsa_fp16_overflow 0
		.amdhsa_workgroup_processor_mode 1
		.amdhsa_memory_ordered 1
		.amdhsa_forward_progress 0
		.amdhsa_shared_vgpr_count 0
		.amdhsa_exception_fp_ieee_invalid_op 0
		.amdhsa_exception_fp_denorm_src 0
		.amdhsa_exception_fp_ieee_div_zero 0
		.amdhsa_exception_fp_ieee_overflow 0
		.amdhsa_exception_fp_ieee_underflow 0
		.amdhsa_exception_fp_ieee_inexact 0
		.amdhsa_exception_int_div_zero 0
	.end_amdhsa_kernel
	.section	.text._Z34thread_search_out_of_bounds_kernelIjjN7rocprim17ROCPRIM_304000_NS4lessIjEEEvPT_S5_PT0_S7_S6_S6_T1_,"axG",@progbits,_Z34thread_search_out_of_bounds_kernelIjjN7rocprim17ROCPRIM_304000_NS4lessIjEEEvPT_S5_PT0_S7_S6_S6_T1_,comdat
.Lfunc_end97:
	.size	_Z34thread_search_out_of_bounds_kernelIjjN7rocprim17ROCPRIM_304000_NS4lessIjEEEvPT_S5_PT0_S7_S6_S6_T1_, .Lfunc_end97-_Z34thread_search_out_of_bounds_kernelIjjN7rocprim17ROCPRIM_304000_NS4lessIjEEEvPT_S5_PT0_S7_S6_S6_T1_
                                        ; -- End function
	.section	.AMDGPU.csdata,"",@progbits
; Kernel info:
; codeLenInByte = 216
; NumSgprs: 22
; NumVgprs: 3
; ScratchSize: 0
; MemoryBound: 0
; FloatMode: 240
; IeeeMode: 1
; LDSByteSize: 0 bytes/workgroup (compile time only)
; SGPRBlocks: 2
; VGPRBlocks: 0
; NumSGPRsForWavesPerEU: 22
; NumVGPRsForWavesPerEU: 3
; Occupancy: 16
; WaveLimiterHint : 0
; COMPUTE_PGM_RSRC2:SCRATCH_EN: 0
; COMPUTE_PGM_RSRC2:USER_SGPR: 15
; COMPUTE_PGM_RSRC2:TRAP_HANDLER: 0
; COMPUTE_PGM_RSRC2:TGID_X_EN: 1
; COMPUTE_PGM_RSRC2:TGID_Y_EN: 0
; COMPUTE_PGM_RSRC2:TGID_Z_EN: 0
; COMPUTE_PGM_RSRC2:TIDIG_COMP_CNT: 0
	.section	.text._Z20thread_search_kernelIjjN7rocprim17ROCPRIM_304000_NS7greaterIjEETnT0_Lj4EEvPT_S6_PS4_S7_S4_S4_T1_,"axG",@progbits,_Z20thread_search_kernelIjjN7rocprim17ROCPRIM_304000_NS7greaterIjEETnT0_Lj4EEvPT_S6_PS4_S7_S4_S4_T1_,comdat
	.protected	_Z20thread_search_kernelIjjN7rocprim17ROCPRIM_304000_NS7greaterIjEETnT0_Lj4EEvPT_S6_PS4_S7_S4_S4_T1_ ; -- Begin function _Z20thread_search_kernelIjjN7rocprim17ROCPRIM_304000_NS7greaterIjEETnT0_Lj4EEvPT_S6_PS4_S7_S4_S4_T1_
	.globl	_Z20thread_search_kernelIjjN7rocprim17ROCPRIM_304000_NS7greaterIjEETnT0_Lj4EEvPT_S6_PS4_S7_S4_S4_T1_
	.p2align	8
	.type	_Z20thread_search_kernelIjjN7rocprim17ROCPRIM_304000_NS7greaterIjEETnT0_Lj4EEvPT_S6_PS4_S7_S4_S4_T1_,@function
_Z20thread_search_kernelIjjN7rocprim17ROCPRIM_304000_NS7greaterIjEETnT0_Lj4EEvPT_S6_PS4_S7_S4_S4_T1_: ; @_Z20thread_search_kernelIjjN7rocprim17ROCPRIM_304000_NS7greaterIjEETnT0_Lj4EEvPT_S6_PS4_S7_S4_S4_T1_
; %bb.0:
	s_clause 0x1
	s_load_b32 s2, s[0:1], 0x3c
	s_load_b64 s[8:9], s[0:1], 0x20
	s_waitcnt lgkmcnt(0)
	s_and_b32 s2, s2, 0xffff
	s_delay_alu instid0(SALU_CYCLE_1) | instskip(SKIP_1) | instid1(VALU_DEP_1)
	v_mad_u64_u32 v[1:2], null, s15, s2, v[0:1]
	s_load_b256 s[0:7], s[0:1], 0x0
	v_lshlrev_b32_e32 v0, 2, v1
	s_delay_alu instid0(VALU_DEP_1) | instskip(SKIP_2) | instid1(VALU_DEP_1)
	v_sub_nc_u32_e64 v4, v0, s9 clamp
	v_min_u32_e32 v5, s8, v0
	s_mov_b32 s9, exec_lo
	v_cmpx_lt_u32_e64 v4, v5
	s_cbranch_execz .LBB98_4
; %bb.1:
	v_mov_b32_e32 v3, 0
	s_mov_b32 s10, 0
	.p2align	6
.LBB98_2:                               ; =>This Inner Loop Header: Depth=1
	s_delay_alu instid0(VALU_DEP_1) | instskip(NEXT) | instid1(VALU_DEP_1)
	v_dual_mov_b32 v7, v3 :: v_dual_add_nc_u32 v2, v5, v4
	v_lshrrev_b32_e32 v2, 1, v2
	s_delay_alu instid0(VALU_DEP_1) | instskip(SKIP_1) | instid1(VALU_DEP_2)
	v_xad_u32 v6, v2, -1, v0
	v_lshlrev_b64 v[8:9], 2, v[2:3]
	v_lshlrev_b64 v[6:7], 2, v[6:7]
	s_waitcnt lgkmcnt(0)
	s_delay_alu instid0(VALU_DEP_2) | instskip(NEXT) | instid1(VALU_DEP_3)
	v_add_co_u32 v8, vcc_lo, s0, v8
	v_add_co_ci_u32_e32 v9, vcc_lo, s1, v9, vcc_lo
	s_delay_alu instid0(VALU_DEP_3) | instskip(NEXT) | instid1(VALU_DEP_4)
	v_add_co_u32 v6, vcc_lo, s2, v6
	v_add_co_ci_u32_e32 v7, vcc_lo, s3, v7, vcc_lo
	global_load_b32 v8, v[8:9], off
	global_load_b32 v6, v[6:7], off
	v_add_nc_u32_e32 v7, 1, v2
	s_waitcnt vmcnt(0)
	v_cmp_gt_u32_e32 vcc_lo, v6, v8
	s_delay_alu instid0(VALU_DEP_2) | instskip(NEXT) | instid1(VALU_DEP_1)
	v_dual_cndmask_b32 v5, v5, v2 :: v_dual_cndmask_b32 v4, v7, v4
	v_cmp_ge_u32_e32 vcc_lo, v4, v5
	s_or_b32 s10, vcc_lo, s10
	s_delay_alu instid0(SALU_CYCLE_1)
	s_and_not1_b32 exec_lo, exec_lo, s10
	s_cbranch_execnz .LBB98_2
; %bb.3:
	s_or_b32 exec_lo, exec_lo, s10
.LBB98_4:
	s_delay_alu instid0(SALU_CYCLE_1) | instskip(SKIP_3) | instid1(VALU_DEP_3)
	s_or_b32 exec_lo, exec_lo, s9
	v_mov_b32_e32 v2, 0
	v_min_u32_e32 v5, s8, v4
	v_sub_nc_u32_e32 v6, v0, v4
	v_lshlrev_b64 v[1:2], 2, v[1:2]
	s_waitcnt lgkmcnt(0)
	s_delay_alu instid0(VALU_DEP_1) | instskip(NEXT) | instid1(VALU_DEP_2)
	v_add_co_u32 v3, vcc_lo, s4, v1
	v_add_co_ci_u32_e32 v4, vcc_lo, s5, v2, vcc_lo
	v_add_co_u32 v0, vcc_lo, s6, v1
	v_add_co_ci_u32_e32 v1, vcc_lo, s7, v2, vcc_lo
	global_store_b32 v[3:4], v5, off
	global_store_b32 v[0:1], v6, off
	s_nop 0
	s_sendmsg sendmsg(MSG_DEALLOC_VGPRS)
	s_endpgm
	.section	.rodata,"a",@progbits
	.p2align	6, 0x0
	.amdhsa_kernel _Z20thread_search_kernelIjjN7rocprim17ROCPRIM_304000_NS7greaterIjEETnT0_Lj4EEvPT_S6_PS4_S7_S4_S4_T1_
		.amdhsa_group_segment_fixed_size 0
		.amdhsa_private_segment_fixed_size 0
		.amdhsa_kernarg_size 304
		.amdhsa_user_sgpr_count 15
		.amdhsa_user_sgpr_dispatch_ptr 0
		.amdhsa_user_sgpr_queue_ptr 0
		.amdhsa_user_sgpr_kernarg_segment_ptr 1
		.amdhsa_user_sgpr_dispatch_id 0
		.amdhsa_user_sgpr_private_segment_size 0
		.amdhsa_wavefront_size32 1
		.amdhsa_uses_dynamic_stack 0
		.amdhsa_enable_private_segment 0
		.amdhsa_system_sgpr_workgroup_id_x 1
		.amdhsa_system_sgpr_workgroup_id_y 0
		.amdhsa_system_sgpr_workgroup_id_z 0
		.amdhsa_system_sgpr_workgroup_info 0
		.amdhsa_system_vgpr_workitem_id 0
		.amdhsa_next_free_vgpr 10
		.amdhsa_next_free_sgpr 16
		.amdhsa_reserve_vcc 1
		.amdhsa_float_round_mode_32 0
		.amdhsa_float_round_mode_16_64 0
		.amdhsa_float_denorm_mode_32 3
		.amdhsa_float_denorm_mode_16_64 3
		.amdhsa_dx10_clamp 1
		.amdhsa_ieee_mode 1
		.amdhsa_fp16_overflow 0
		.amdhsa_workgroup_processor_mode 1
		.amdhsa_memory_ordered 1
		.amdhsa_forward_progress 0
		.amdhsa_shared_vgpr_count 0
		.amdhsa_exception_fp_ieee_invalid_op 0
		.amdhsa_exception_fp_denorm_src 0
		.amdhsa_exception_fp_ieee_div_zero 0
		.amdhsa_exception_fp_ieee_overflow 0
		.amdhsa_exception_fp_ieee_underflow 0
		.amdhsa_exception_fp_ieee_inexact 0
		.amdhsa_exception_int_div_zero 0
	.end_amdhsa_kernel
	.section	.text._Z20thread_search_kernelIjjN7rocprim17ROCPRIM_304000_NS7greaterIjEETnT0_Lj4EEvPT_S6_PS4_S7_S4_S4_T1_,"axG",@progbits,_Z20thread_search_kernelIjjN7rocprim17ROCPRIM_304000_NS7greaterIjEETnT0_Lj4EEvPT_S6_PS4_S7_S4_S4_T1_,comdat
.Lfunc_end98:
	.size	_Z20thread_search_kernelIjjN7rocprim17ROCPRIM_304000_NS7greaterIjEETnT0_Lj4EEvPT_S6_PS4_S7_S4_S4_T1_, .Lfunc_end98-_Z20thread_search_kernelIjjN7rocprim17ROCPRIM_304000_NS7greaterIjEETnT0_Lj4EEvPT_S6_PS4_S7_S4_S4_T1_
                                        ; -- End function
	.section	.AMDGPU.csdata,"",@progbits
; Kernel info:
; codeLenInByte = 328
; NumSgprs: 18
; NumVgprs: 10
; ScratchSize: 0
; MemoryBound: 0
; FloatMode: 240
; IeeeMode: 1
; LDSByteSize: 0 bytes/workgroup (compile time only)
; SGPRBlocks: 2
; VGPRBlocks: 1
; NumSGPRsForWavesPerEU: 18
; NumVGPRsForWavesPerEU: 10
; Occupancy: 16
; WaveLimiterHint : 0
; COMPUTE_PGM_RSRC2:SCRATCH_EN: 0
; COMPUTE_PGM_RSRC2:USER_SGPR: 15
; COMPUTE_PGM_RSRC2:TRAP_HANDLER: 0
; COMPUTE_PGM_RSRC2:TGID_X_EN: 1
; COMPUTE_PGM_RSRC2:TGID_Y_EN: 0
; COMPUTE_PGM_RSRC2:TGID_Z_EN: 0
; COMPUTE_PGM_RSRC2:TIDIG_COMP_CNT: 0
	.section	.text._Z34thread_search_out_of_bounds_kernelIjjN7rocprim17ROCPRIM_304000_NS7greaterIjEEEvPT_S5_PT0_S7_S6_S6_T1_,"axG",@progbits,_Z34thread_search_out_of_bounds_kernelIjjN7rocprim17ROCPRIM_304000_NS7greaterIjEEEvPT_S5_PT0_S7_S6_S6_T1_,comdat
	.protected	_Z34thread_search_out_of_bounds_kernelIjjN7rocprim17ROCPRIM_304000_NS7greaterIjEEEvPT_S5_PT0_S7_S6_S6_T1_ ; -- Begin function _Z34thread_search_out_of_bounds_kernelIjjN7rocprim17ROCPRIM_304000_NS7greaterIjEEEvPT_S5_PT0_S7_S6_S6_T1_
	.globl	_Z34thread_search_out_of_bounds_kernelIjjN7rocprim17ROCPRIM_304000_NS7greaterIjEEEvPT_S5_PT0_S7_S6_S6_T1_
	.p2align	8
	.type	_Z34thread_search_out_of_bounds_kernelIjjN7rocprim17ROCPRIM_304000_NS7greaterIjEEEvPT_S5_PT0_S7_S6_S6_T1_,@function
_Z34thread_search_out_of_bounds_kernelIjjN7rocprim17ROCPRIM_304000_NS7greaterIjEEEvPT_S5_PT0_S7_S6_S6_T1_: ; @_Z34thread_search_out_of_bounds_kernelIjjN7rocprim17ROCPRIM_304000_NS7greaterIjEEEvPT_S5_PT0_S7_S6_S6_T1_
; %bb.0:
	s_clause 0x1
	s_load_b64 s[8:9], s[0:1], 0x20
	s_load_b256 s[0:7], s[0:1], 0x0
	s_waitcnt lgkmcnt(0)
	s_add_i32 s13, s9, s8
	s_delay_alu instid0(SALU_CYCLE_1) | instskip(NEXT) | instid1(SALU_CYCLE_1)
	s_add_i32 s12, s13, 1
	v_sub_nc_u32_e64 v0, s12, s9 clamp
	s_min_u32 s14, s12, s8
	s_delay_alu instid0(VALU_DEP_1) | instid1(SALU_CYCLE_1)
	v_cmp_le_u32_e32 vcc_lo, s14, v0
	v_readfirstlane_b32 s9, v0
	s_cbranch_vccnz .LBB99_3
; %bb.1:
	s_mov_b32 s11, 0
	.p2align	6
.LBB99_2:                               ; =>This Inner Loop Header: Depth=1
	s_delay_alu instid0(VALU_DEP_1) | instskip(SKIP_2) | instid1(SALU_CYCLE_1)
	s_add_i32 s10, s14, s9
	s_mov_b32 s17, s11
	s_lshr_b32 s10, s10, 1
	s_lshl_b64 s[18:19], s[10:11], 2
	s_sub_i32 s16, s13, s10
	s_add_u32 s18, s0, s18
	s_addc_u32 s19, s1, s19
	s_lshl_b64 s[16:17], s[16:17], 2
	s_load_b32 s15, s[18:19], 0x0
	s_add_u32 s16, s2, s16
	s_addc_u32 s17, s3, s17
	s_load_b32 s16, s[16:17], 0x0
	s_add_i32 s17, s10, 1
	s_waitcnt lgkmcnt(0)
	s_cmp_gt_u32 s16, s15
	s_cselect_b32 s14, s10, s14
	s_cselect_b32 s9, s9, s17
	s_delay_alu instid0(SALU_CYCLE_1)
	s_cmp_lt_u32 s9, s14
	s_cbranch_scc1 .LBB99_2
.LBB99_3:
	s_delay_alu instid0(VALU_DEP_1)
	s_min_u32 s0, s9, s8
	s_sub_i32 s1, s12, s9
	v_dual_mov_b32 v0, 0 :: v_dual_mov_b32 v1, s0
	v_mov_b32_e32 v2, s1
	s_clause 0x1
	global_store_b32 v0, v1, s[4:5]
	global_store_b32 v0, v2, s[6:7]
	s_nop 0
	s_sendmsg sendmsg(MSG_DEALLOC_VGPRS)
	s_endpgm
	.section	.rodata,"a",@progbits
	.p2align	6, 0x0
	.amdhsa_kernel _Z34thread_search_out_of_bounds_kernelIjjN7rocprim17ROCPRIM_304000_NS7greaterIjEEEvPT_S5_PT0_S7_S6_S6_T1_
		.amdhsa_group_segment_fixed_size 0
		.amdhsa_private_segment_fixed_size 0
		.amdhsa_kernarg_size 44
		.amdhsa_user_sgpr_count 15
		.amdhsa_user_sgpr_dispatch_ptr 0
		.amdhsa_user_sgpr_queue_ptr 0
		.amdhsa_user_sgpr_kernarg_segment_ptr 1
		.amdhsa_user_sgpr_dispatch_id 0
		.amdhsa_user_sgpr_private_segment_size 0
		.amdhsa_wavefront_size32 1
		.amdhsa_uses_dynamic_stack 0
		.amdhsa_enable_private_segment 0
		.amdhsa_system_sgpr_workgroup_id_x 1
		.amdhsa_system_sgpr_workgroup_id_y 0
		.amdhsa_system_sgpr_workgroup_id_z 0
		.amdhsa_system_sgpr_workgroup_info 0
		.amdhsa_system_vgpr_workitem_id 0
		.amdhsa_next_free_vgpr 3
		.amdhsa_next_free_sgpr 20
		.amdhsa_reserve_vcc 1
		.amdhsa_float_round_mode_32 0
		.amdhsa_float_round_mode_16_64 0
		.amdhsa_float_denorm_mode_32 3
		.amdhsa_float_denorm_mode_16_64 3
		.amdhsa_dx10_clamp 1
		.amdhsa_ieee_mode 1
		.amdhsa_fp16_overflow 0
		.amdhsa_workgroup_processor_mode 1
		.amdhsa_memory_ordered 1
		.amdhsa_forward_progress 0
		.amdhsa_shared_vgpr_count 0
		.amdhsa_exception_fp_ieee_invalid_op 0
		.amdhsa_exception_fp_denorm_src 0
		.amdhsa_exception_fp_ieee_div_zero 0
		.amdhsa_exception_fp_ieee_overflow 0
		.amdhsa_exception_fp_ieee_underflow 0
		.amdhsa_exception_fp_ieee_inexact 0
		.amdhsa_exception_int_div_zero 0
	.end_amdhsa_kernel
	.section	.text._Z34thread_search_out_of_bounds_kernelIjjN7rocprim17ROCPRIM_304000_NS7greaterIjEEEvPT_S5_PT0_S7_S6_S6_T1_,"axG",@progbits,_Z34thread_search_out_of_bounds_kernelIjjN7rocprim17ROCPRIM_304000_NS7greaterIjEEEvPT_S5_PT0_S7_S6_S6_T1_,comdat
.Lfunc_end99:
	.size	_Z34thread_search_out_of_bounds_kernelIjjN7rocprim17ROCPRIM_304000_NS7greaterIjEEEvPT_S5_PT0_S7_S6_S6_T1_, .Lfunc_end99-_Z34thread_search_out_of_bounds_kernelIjjN7rocprim17ROCPRIM_304000_NS7greaterIjEEEvPT_S5_PT0_S7_S6_S6_T1_
                                        ; -- End function
	.section	.AMDGPU.csdata,"",@progbits
; Kernel info:
; codeLenInByte = 216
; NumSgprs: 22
; NumVgprs: 3
; ScratchSize: 0
; MemoryBound: 0
; FloatMode: 240
; IeeeMode: 1
; LDSByteSize: 0 bytes/workgroup (compile time only)
; SGPRBlocks: 2
; VGPRBlocks: 0
; NumSGPRsForWavesPerEU: 22
; NumVGPRsForWavesPerEU: 3
; Occupancy: 16
; WaveLimiterHint : 0
; COMPUTE_PGM_RSRC2:SCRATCH_EN: 0
; COMPUTE_PGM_RSRC2:USER_SGPR: 15
; COMPUTE_PGM_RSRC2:TRAP_HANDLER: 0
; COMPUTE_PGM_RSRC2:TGID_X_EN: 1
; COMPUTE_PGM_RSRC2:TGID_Y_EN: 0
; COMPUTE_PGM_RSRC2:TGID_Z_EN: 0
; COMPUTE_PGM_RSRC2:TIDIG_COMP_CNT: 0
	.section	.text._Z20thread_search_kernelItjN7rocprim17ROCPRIM_304000_NS4lessItEETnT0_Lj4EEvPT_S6_PS4_S7_S4_S4_T1_,"axG",@progbits,_Z20thread_search_kernelItjN7rocprim17ROCPRIM_304000_NS4lessItEETnT0_Lj4EEvPT_S6_PS4_S7_S4_S4_T1_,comdat
	.protected	_Z20thread_search_kernelItjN7rocprim17ROCPRIM_304000_NS4lessItEETnT0_Lj4EEvPT_S6_PS4_S7_S4_S4_T1_ ; -- Begin function _Z20thread_search_kernelItjN7rocprim17ROCPRIM_304000_NS4lessItEETnT0_Lj4EEvPT_S6_PS4_S7_S4_S4_T1_
	.globl	_Z20thread_search_kernelItjN7rocprim17ROCPRIM_304000_NS4lessItEETnT0_Lj4EEvPT_S6_PS4_S7_S4_S4_T1_
	.p2align	8
	.type	_Z20thread_search_kernelItjN7rocprim17ROCPRIM_304000_NS4lessItEETnT0_Lj4EEvPT_S6_PS4_S7_S4_S4_T1_,@function
_Z20thread_search_kernelItjN7rocprim17ROCPRIM_304000_NS4lessItEETnT0_Lj4EEvPT_S6_PS4_S7_S4_S4_T1_: ; @_Z20thread_search_kernelItjN7rocprim17ROCPRIM_304000_NS4lessItEETnT0_Lj4EEvPT_S6_PS4_S7_S4_S4_T1_
; %bb.0:
	s_clause 0x1
	s_load_b32 s2, s[0:1], 0x3c
	s_load_b64 s[8:9], s[0:1], 0x20
	s_waitcnt lgkmcnt(0)
	s_and_b32 s2, s2, 0xffff
	s_delay_alu instid0(SALU_CYCLE_1) | instskip(SKIP_1) | instid1(VALU_DEP_1)
	v_mad_u64_u32 v[1:2], null, s15, s2, v[0:1]
	s_load_b256 s[0:7], s[0:1], 0x0
	v_lshlrev_b32_e32 v0, 2, v1
	s_delay_alu instid0(VALU_DEP_1) | instskip(SKIP_2) | instid1(VALU_DEP_1)
	v_sub_nc_u32_e64 v4, v0, s9 clamp
	v_min_u32_e32 v5, s8, v0
	s_mov_b32 s9, exec_lo
	v_cmpx_lt_u32_e64 v4, v5
	s_cbranch_execz .LBB100_4
; %bb.1:
	v_mov_b32_e32 v3, 0
	s_mov_b32 s10, 0
	.p2align	6
.LBB100_2:                              ; =>This Inner Loop Header: Depth=1
	v_add_nc_u32_e32 v8, v5, v4
	s_delay_alu instid0(VALU_DEP_1) | instskip(NEXT) | instid1(VALU_DEP_1)
	v_lshrrev_b32_e32 v9, 1, v8
	v_xad_u32 v2, v9, -1, v0
	s_delay_alu instid0(VALU_DEP_1) | instskip(SKIP_2) | instid1(VALU_DEP_2)
	v_lshlrev_b64 v[6:7], 1, v[2:3]
	v_and_b32_e32 v2, -2, v8
	s_waitcnt lgkmcnt(0)
	v_add_co_u32 v6, vcc_lo, s2, v6
	s_delay_alu instid0(VALU_DEP_3)
	v_add_co_ci_u32_e32 v7, vcc_lo, s3, v7, vcc_lo
	global_load_u16 v2, v2, s[0:1]
	global_load_u16 v6, v[6:7], off
	v_add_nc_u32_e32 v7, 1, v9
	s_waitcnt vmcnt(0)
	v_cmp_lt_u16_e32 vcc_lo, v6, v2
	s_delay_alu instid0(VALU_DEP_2) | instskip(NEXT) | instid1(VALU_DEP_1)
	v_dual_cndmask_b32 v5, v5, v9 :: v_dual_cndmask_b32 v4, v7, v4
	v_cmp_ge_u32_e32 vcc_lo, v4, v5
	s_or_b32 s10, vcc_lo, s10
	s_delay_alu instid0(SALU_CYCLE_1)
	s_and_not1_b32 exec_lo, exec_lo, s10
	s_cbranch_execnz .LBB100_2
; %bb.3:
	s_or_b32 exec_lo, exec_lo, s10
.LBB100_4:
	s_delay_alu instid0(SALU_CYCLE_1) | instskip(SKIP_3) | instid1(VALU_DEP_3)
	s_or_b32 exec_lo, exec_lo, s9
	v_mov_b32_e32 v2, 0
	v_min_u32_e32 v5, s8, v4
	v_sub_nc_u32_e32 v6, v0, v4
	v_lshlrev_b64 v[1:2], 2, v[1:2]
	s_waitcnt lgkmcnt(0)
	s_delay_alu instid0(VALU_DEP_1) | instskip(NEXT) | instid1(VALU_DEP_2)
	v_add_co_u32 v3, vcc_lo, s4, v1
	v_add_co_ci_u32_e32 v4, vcc_lo, s5, v2, vcc_lo
	v_add_co_u32 v0, vcc_lo, s6, v1
	v_add_co_ci_u32_e32 v1, vcc_lo, s7, v2, vcc_lo
	global_store_b32 v[3:4], v5, off
	global_store_b32 v[0:1], v6, off
	s_nop 0
	s_sendmsg sendmsg(MSG_DEALLOC_VGPRS)
	s_endpgm
	.section	.rodata,"a",@progbits
	.p2align	6, 0x0
	.amdhsa_kernel _Z20thread_search_kernelItjN7rocprim17ROCPRIM_304000_NS4lessItEETnT0_Lj4EEvPT_S6_PS4_S7_S4_S4_T1_
		.amdhsa_group_segment_fixed_size 0
		.amdhsa_private_segment_fixed_size 0
		.amdhsa_kernarg_size 304
		.amdhsa_user_sgpr_count 15
		.amdhsa_user_sgpr_dispatch_ptr 0
		.amdhsa_user_sgpr_queue_ptr 0
		.amdhsa_user_sgpr_kernarg_segment_ptr 1
		.amdhsa_user_sgpr_dispatch_id 0
		.amdhsa_user_sgpr_private_segment_size 0
		.amdhsa_wavefront_size32 1
		.amdhsa_uses_dynamic_stack 0
		.amdhsa_enable_private_segment 0
		.amdhsa_system_sgpr_workgroup_id_x 1
		.amdhsa_system_sgpr_workgroup_id_y 0
		.amdhsa_system_sgpr_workgroup_id_z 0
		.amdhsa_system_sgpr_workgroup_info 0
		.amdhsa_system_vgpr_workitem_id 0
		.amdhsa_next_free_vgpr 10
		.amdhsa_next_free_sgpr 16
		.amdhsa_reserve_vcc 1
		.amdhsa_float_round_mode_32 0
		.amdhsa_float_round_mode_16_64 0
		.amdhsa_float_denorm_mode_32 3
		.amdhsa_float_denorm_mode_16_64 3
		.amdhsa_dx10_clamp 1
		.amdhsa_ieee_mode 1
		.amdhsa_fp16_overflow 0
		.amdhsa_workgroup_processor_mode 1
		.amdhsa_memory_ordered 1
		.amdhsa_forward_progress 0
		.amdhsa_shared_vgpr_count 0
		.amdhsa_exception_fp_ieee_invalid_op 0
		.amdhsa_exception_fp_denorm_src 0
		.amdhsa_exception_fp_ieee_div_zero 0
		.amdhsa_exception_fp_ieee_overflow 0
		.amdhsa_exception_fp_ieee_underflow 0
		.amdhsa_exception_fp_ieee_inexact 0
		.amdhsa_exception_int_div_zero 0
	.end_amdhsa_kernel
	.section	.text._Z20thread_search_kernelItjN7rocprim17ROCPRIM_304000_NS4lessItEETnT0_Lj4EEvPT_S6_PS4_S7_S4_S4_T1_,"axG",@progbits,_Z20thread_search_kernelItjN7rocprim17ROCPRIM_304000_NS4lessItEETnT0_Lj4EEvPT_S6_PS4_S7_S4_S4_T1_,comdat
.Lfunc_end100:
	.size	_Z20thread_search_kernelItjN7rocprim17ROCPRIM_304000_NS4lessItEETnT0_Lj4EEvPT_S6_PS4_S7_S4_S4_T1_, .Lfunc_end100-_Z20thread_search_kernelItjN7rocprim17ROCPRIM_304000_NS4lessItEETnT0_Lj4EEvPT_S6_PS4_S7_S4_S4_T1_
                                        ; -- End function
	.section	.AMDGPU.csdata,"",@progbits
; Kernel info:
; codeLenInByte = 304
; NumSgprs: 18
; NumVgprs: 10
; ScratchSize: 0
; MemoryBound: 0
; FloatMode: 240
; IeeeMode: 1
; LDSByteSize: 0 bytes/workgroup (compile time only)
; SGPRBlocks: 2
; VGPRBlocks: 1
; NumSGPRsForWavesPerEU: 18
; NumVGPRsForWavesPerEU: 10
; Occupancy: 16
; WaveLimiterHint : 0
; COMPUTE_PGM_RSRC2:SCRATCH_EN: 0
; COMPUTE_PGM_RSRC2:USER_SGPR: 15
; COMPUTE_PGM_RSRC2:TRAP_HANDLER: 0
; COMPUTE_PGM_RSRC2:TGID_X_EN: 1
; COMPUTE_PGM_RSRC2:TGID_Y_EN: 0
; COMPUTE_PGM_RSRC2:TGID_Z_EN: 0
; COMPUTE_PGM_RSRC2:TIDIG_COMP_CNT: 0
	.section	.text._Z34thread_search_out_of_bounds_kernelItjN7rocprim17ROCPRIM_304000_NS4lessItEEEvPT_S5_PT0_S7_S6_S6_T1_,"axG",@progbits,_Z34thread_search_out_of_bounds_kernelItjN7rocprim17ROCPRIM_304000_NS4lessItEEEvPT_S5_PT0_S7_S6_S6_T1_,comdat
	.protected	_Z34thread_search_out_of_bounds_kernelItjN7rocprim17ROCPRIM_304000_NS4lessItEEEvPT_S5_PT0_S7_S6_S6_T1_ ; -- Begin function _Z34thread_search_out_of_bounds_kernelItjN7rocprim17ROCPRIM_304000_NS4lessItEEEvPT_S5_PT0_S7_S6_S6_T1_
	.globl	_Z34thread_search_out_of_bounds_kernelItjN7rocprim17ROCPRIM_304000_NS4lessItEEEvPT_S5_PT0_S7_S6_S6_T1_
	.p2align	8
	.type	_Z34thread_search_out_of_bounds_kernelItjN7rocprim17ROCPRIM_304000_NS4lessItEEEvPT_S5_PT0_S7_S6_S6_T1_,@function
_Z34thread_search_out_of_bounds_kernelItjN7rocprim17ROCPRIM_304000_NS4lessItEEEvPT_S5_PT0_S7_S6_S6_T1_: ; @_Z34thread_search_out_of_bounds_kernelItjN7rocprim17ROCPRIM_304000_NS4lessItEEEvPT_S5_PT0_S7_S6_S6_T1_
; %bb.0:
	s_clause 0x1
	s_load_b64 s[8:9], s[0:1], 0x20
	s_load_b256 s[0:7], s[0:1], 0x0
	s_waitcnt lgkmcnt(0)
	s_add_i32 s13, s9, s8
	s_delay_alu instid0(SALU_CYCLE_1) | instskip(NEXT) | instid1(SALU_CYCLE_1)
	s_add_i32 s12, s13, 1
	v_sub_nc_u32_e64 v0, s12, s9 clamp
	s_min_u32 s14, s12, s8
	s_delay_alu instid0(VALU_DEP_1) | instid1(SALU_CYCLE_1)
	v_cmp_le_u32_e32 vcc_lo, s14, v0
	v_readfirstlane_b32 s9, v0
	s_cbranch_vccnz .LBB101_3
; %bb.1:
	v_mov_b32_e32 v0, 0
	s_mov_b32 s11, 0
	.p2align	6
.LBB101_2:                              ; =>This Inner Loop Header: Depth=1
	s_delay_alu instid0(VALU_DEP_2) | instskip(NEXT) | instid1(SALU_CYCLE_1)
	s_add_i32 s10, s14, s9
	s_lshr_b32 s15, s10, 1
	s_and_b32 s16, s10, -2
	s_sub_i32 s10, s13, s15
	v_mov_b32_e32 v1, s16
	s_lshl_b64 s[16:17], s[10:11], 1
	s_delay_alu instid0(SALU_CYCLE_1)
	s_add_u32 s16, s2, s16
	s_addc_u32 s17, s3, s17
	global_load_u16 v1, v1, s[0:1]
	global_load_u16 v2, v0, s[16:17]
	s_add_i32 s17, s15, 1
	s_waitcnt vmcnt(1)
	v_readfirstlane_b32 s10, v1
	s_waitcnt vmcnt(0)
	v_readfirstlane_b32 s16, v2
	s_delay_alu instid0(VALU_DEP_1) | instskip(SKIP_2) | instid1(SALU_CYCLE_1)
	s_cmp_lt_u32 s16, s10
	s_cselect_b32 s14, s15, s14
	s_cselect_b32 s9, s9, s17
	s_cmp_lt_u32 s9, s14
	s_cbranch_scc1 .LBB101_2
.LBB101_3:
	s_delay_alu instid0(VALU_DEP_1)
	s_min_u32 s0, s9, s8
	s_sub_i32 s1, s12, s9
	v_dual_mov_b32 v0, 0 :: v_dual_mov_b32 v1, s0
	v_mov_b32_e32 v2, s1
	s_clause 0x1
	global_store_b32 v0, v1, s[4:5]
	global_store_b32 v0, v2, s[6:7]
	s_nop 0
	s_sendmsg sendmsg(MSG_DEALLOC_VGPRS)
	s_endpgm
	.section	.rodata,"a",@progbits
	.p2align	6, 0x0
	.amdhsa_kernel _Z34thread_search_out_of_bounds_kernelItjN7rocprim17ROCPRIM_304000_NS4lessItEEEvPT_S5_PT0_S7_S6_S6_T1_
		.amdhsa_group_segment_fixed_size 0
		.amdhsa_private_segment_fixed_size 0
		.amdhsa_kernarg_size 44
		.amdhsa_user_sgpr_count 15
		.amdhsa_user_sgpr_dispatch_ptr 0
		.amdhsa_user_sgpr_queue_ptr 0
		.amdhsa_user_sgpr_kernarg_segment_ptr 1
		.amdhsa_user_sgpr_dispatch_id 0
		.amdhsa_user_sgpr_private_segment_size 0
		.amdhsa_wavefront_size32 1
		.amdhsa_uses_dynamic_stack 0
		.amdhsa_enable_private_segment 0
		.amdhsa_system_sgpr_workgroup_id_x 1
		.amdhsa_system_sgpr_workgroup_id_y 0
		.amdhsa_system_sgpr_workgroup_id_z 0
		.amdhsa_system_sgpr_workgroup_info 0
		.amdhsa_system_vgpr_workitem_id 0
		.amdhsa_next_free_vgpr 3
		.amdhsa_next_free_sgpr 18
		.amdhsa_reserve_vcc 1
		.amdhsa_float_round_mode_32 0
		.amdhsa_float_round_mode_16_64 0
		.amdhsa_float_denorm_mode_32 3
		.amdhsa_float_denorm_mode_16_64 3
		.amdhsa_dx10_clamp 1
		.amdhsa_ieee_mode 1
		.amdhsa_fp16_overflow 0
		.amdhsa_workgroup_processor_mode 1
		.amdhsa_memory_ordered 1
		.amdhsa_forward_progress 0
		.amdhsa_shared_vgpr_count 0
		.amdhsa_exception_fp_ieee_invalid_op 0
		.amdhsa_exception_fp_denorm_src 0
		.amdhsa_exception_fp_ieee_div_zero 0
		.amdhsa_exception_fp_ieee_overflow 0
		.amdhsa_exception_fp_ieee_underflow 0
		.amdhsa_exception_fp_ieee_inexact 0
		.amdhsa_exception_int_div_zero 0
	.end_amdhsa_kernel
	.section	.text._Z34thread_search_out_of_bounds_kernelItjN7rocprim17ROCPRIM_304000_NS4lessItEEEvPT_S5_PT0_S7_S6_S6_T1_,"axG",@progbits,_Z34thread_search_out_of_bounds_kernelItjN7rocprim17ROCPRIM_304000_NS4lessItEEEvPT_S5_PT0_S7_S6_S6_T1_,comdat
.Lfunc_end101:
	.size	_Z34thread_search_out_of_bounds_kernelItjN7rocprim17ROCPRIM_304000_NS4lessItEEEvPT_S5_PT0_S7_S6_S6_T1_, .Lfunc_end101-_Z34thread_search_out_of_bounds_kernelItjN7rocprim17ROCPRIM_304000_NS4lessItEEEvPT_S5_PT0_S7_S6_S6_T1_
                                        ; -- End function
	.section	.AMDGPU.csdata,"",@progbits
; Kernel info:
; codeLenInByte = 228
; NumSgprs: 20
; NumVgprs: 3
; ScratchSize: 0
; MemoryBound: 0
; FloatMode: 240
; IeeeMode: 1
; LDSByteSize: 0 bytes/workgroup (compile time only)
; SGPRBlocks: 2
; VGPRBlocks: 0
; NumSGPRsForWavesPerEU: 20
; NumVGPRsForWavesPerEU: 3
; Occupancy: 16
; WaveLimiterHint : 0
; COMPUTE_PGM_RSRC2:SCRATCH_EN: 0
; COMPUTE_PGM_RSRC2:USER_SGPR: 15
; COMPUTE_PGM_RSRC2:TRAP_HANDLER: 0
; COMPUTE_PGM_RSRC2:TGID_X_EN: 1
; COMPUTE_PGM_RSRC2:TGID_Y_EN: 0
; COMPUTE_PGM_RSRC2:TGID_Z_EN: 0
; COMPUTE_PGM_RSRC2:TIDIG_COMP_CNT: 0
	.section	.text._Z20thread_search_kernelItjN7rocprim17ROCPRIM_304000_NS7greaterItEETnT0_Lj4EEvPT_S6_PS4_S7_S4_S4_T1_,"axG",@progbits,_Z20thread_search_kernelItjN7rocprim17ROCPRIM_304000_NS7greaterItEETnT0_Lj4EEvPT_S6_PS4_S7_S4_S4_T1_,comdat
	.protected	_Z20thread_search_kernelItjN7rocprim17ROCPRIM_304000_NS7greaterItEETnT0_Lj4EEvPT_S6_PS4_S7_S4_S4_T1_ ; -- Begin function _Z20thread_search_kernelItjN7rocprim17ROCPRIM_304000_NS7greaterItEETnT0_Lj4EEvPT_S6_PS4_S7_S4_S4_T1_
	.globl	_Z20thread_search_kernelItjN7rocprim17ROCPRIM_304000_NS7greaterItEETnT0_Lj4EEvPT_S6_PS4_S7_S4_S4_T1_
	.p2align	8
	.type	_Z20thread_search_kernelItjN7rocprim17ROCPRIM_304000_NS7greaterItEETnT0_Lj4EEvPT_S6_PS4_S7_S4_S4_T1_,@function
_Z20thread_search_kernelItjN7rocprim17ROCPRIM_304000_NS7greaterItEETnT0_Lj4EEvPT_S6_PS4_S7_S4_S4_T1_: ; @_Z20thread_search_kernelItjN7rocprim17ROCPRIM_304000_NS7greaterItEETnT0_Lj4EEvPT_S6_PS4_S7_S4_S4_T1_
; %bb.0:
	s_clause 0x1
	s_load_b32 s2, s[0:1], 0x3c
	s_load_b64 s[8:9], s[0:1], 0x20
	s_waitcnt lgkmcnt(0)
	s_and_b32 s2, s2, 0xffff
	s_delay_alu instid0(SALU_CYCLE_1) | instskip(SKIP_1) | instid1(VALU_DEP_1)
	v_mad_u64_u32 v[1:2], null, s15, s2, v[0:1]
	s_load_b256 s[0:7], s[0:1], 0x0
	v_lshlrev_b32_e32 v0, 2, v1
	s_delay_alu instid0(VALU_DEP_1) | instskip(SKIP_2) | instid1(VALU_DEP_1)
	v_sub_nc_u32_e64 v4, v0, s9 clamp
	v_min_u32_e32 v5, s8, v0
	s_mov_b32 s9, exec_lo
	v_cmpx_lt_u32_e64 v4, v5
	s_cbranch_execz .LBB102_4
; %bb.1:
	v_mov_b32_e32 v3, 0
	s_mov_b32 s10, 0
	.p2align	6
.LBB102_2:                              ; =>This Inner Loop Header: Depth=1
	v_add_nc_u32_e32 v8, v5, v4
	s_delay_alu instid0(VALU_DEP_1) | instskip(NEXT) | instid1(VALU_DEP_1)
	v_lshrrev_b32_e32 v9, 1, v8
	v_xad_u32 v2, v9, -1, v0
	s_delay_alu instid0(VALU_DEP_1) | instskip(SKIP_2) | instid1(VALU_DEP_2)
	v_lshlrev_b64 v[6:7], 1, v[2:3]
	v_and_b32_e32 v2, -2, v8
	s_waitcnt lgkmcnt(0)
	v_add_co_u32 v6, vcc_lo, s2, v6
	s_delay_alu instid0(VALU_DEP_3)
	v_add_co_ci_u32_e32 v7, vcc_lo, s3, v7, vcc_lo
	global_load_u16 v2, v2, s[0:1]
	global_load_u16 v6, v[6:7], off
	v_add_nc_u32_e32 v7, 1, v9
	s_waitcnt vmcnt(0)
	v_cmp_gt_u16_e32 vcc_lo, v6, v2
	s_delay_alu instid0(VALU_DEP_2) | instskip(NEXT) | instid1(VALU_DEP_1)
	v_dual_cndmask_b32 v5, v5, v9 :: v_dual_cndmask_b32 v4, v7, v4
	v_cmp_ge_u32_e32 vcc_lo, v4, v5
	s_or_b32 s10, vcc_lo, s10
	s_delay_alu instid0(SALU_CYCLE_1)
	s_and_not1_b32 exec_lo, exec_lo, s10
	s_cbranch_execnz .LBB102_2
; %bb.3:
	s_or_b32 exec_lo, exec_lo, s10
.LBB102_4:
	s_delay_alu instid0(SALU_CYCLE_1) | instskip(SKIP_3) | instid1(VALU_DEP_3)
	s_or_b32 exec_lo, exec_lo, s9
	v_mov_b32_e32 v2, 0
	v_min_u32_e32 v5, s8, v4
	v_sub_nc_u32_e32 v6, v0, v4
	v_lshlrev_b64 v[1:2], 2, v[1:2]
	s_waitcnt lgkmcnt(0)
	s_delay_alu instid0(VALU_DEP_1) | instskip(NEXT) | instid1(VALU_DEP_2)
	v_add_co_u32 v3, vcc_lo, s4, v1
	v_add_co_ci_u32_e32 v4, vcc_lo, s5, v2, vcc_lo
	v_add_co_u32 v0, vcc_lo, s6, v1
	v_add_co_ci_u32_e32 v1, vcc_lo, s7, v2, vcc_lo
	global_store_b32 v[3:4], v5, off
	global_store_b32 v[0:1], v6, off
	s_nop 0
	s_sendmsg sendmsg(MSG_DEALLOC_VGPRS)
	s_endpgm
	.section	.rodata,"a",@progbits
	.p2align	6, 0x0
	.amdhsa_kernel _Z20thread_search_kernelItjN7rocprim17ROCPRIM_304000_NS7greaterItEETnT0_Lj4EEvPT_S6_PS4_S7_S4_S4_T1_
		.amdhsa_group_segment_fixed_size 0
		.amdhsa_private_segment_fixed_size 0
		.amdhsa_kernarg_size 304
		.amdhsa_user_sgpr_count 15
		.amdhsa_user_sgpr_dispatch_ptr 0
		.amdhsa_user_sgpr_queue_ptr 0
		.amdhsa_user_sgpr_kernarg_segment_ptr 1
		.amdhsa_user_sgpr_dispatch_id 0
		.amdhsa_user_sgpr_private_segment_size 0
		.amdhsa_wavefront_size32 1
		.amdhsa_uses_dynamic_stack 0
		.amdhsa_enable_private_segment 0
		.amdhsa_system_sgpr_workgroup_id_x 1
		.amdhsa_system_sgpr_workgroup_id_y 0
		.amdhsa_system_sgpr_workgroup_id_z 0
		.amdhsa_system_sgpr_workgroup_info 0
		.amdhsa_system_vgpr_workitem_id 0
		.amdhsa_next_free_vgpr 10
		.amdhsa_next_free_sgpr 16
		.amdhsa_reserve_vcc 1
		.amdhsa_float_round_mode_32 0
		.amdhsa_float_round_mode_16_64 0
		.amdhsa_float_denorm_mode_32 3
		.amdhsa_float_denorm_mode_16_64 3
		.amdhsa_dx10_clamp 1
		.amdhsa_ieee_mode 1
		.amdhsa_fp16_overflow 0
		.amdhsa_workgroup_processor_mode 1
		.amdhsa_memory_ordered 1
		.amdhsa_forward_progress 0
		.amdhsa_shared_vgpr_count 0
		.amdhsa_exception_fp_ieee_invalid_op 0
		.amdhsa_exception_fp_denorm_src 0
		.amdhsa_exception_fp_ieee_div_zero 0
		.amdhsa_exception_fp_ieee_overflow 0
		.amdhsa_exception_fp_ieee_underflow 0
		.amdhsa_exception_fp_ieee_inexact 0
		.amdhsa_exception_int_div_zero 0
	.end_amdhsa_kernel
	.section	.text._Z20thread_search_kernelItjN7rocprim17ROCPRIM_304000_NS7greaterItEETnT0_Lj4EEvPT_S6_PS4_S7_S4_S4_T1_,"axG",@progbits,_Z20thread_search_kernelItjN7rocprim17ROCPRIM_304000_NS7greaterItEETnT0_Lj4EEvPT_S6_PS4_S7_S4_S4_T1_,comdat
.Lfunc_end102:
	.size	_Z20thread_search_kernelItjN7rocprim17ROCPRIM_304000_NS7greaterItEETnT0_Lj4EEvPT_S6_PS4_S7_S4_S4_T1_, .Lfunc_end102-_Z20thread_search_kernelItjN7rocprim17ROCPRIM_304000_NS7greaterItEETnT0_Lj4EEvPT_S6_PS4_S7_S4_S4_T1_
                                        ; -- End function
	.section	.AMDGPU.csdata,"",@progbits
; Kernel info:
; codeLenInByte = 304
; NumSgprs: 18
; NumVgprs: 10
; ScratchSize: 0
; MemoryBound: 0
; FloatMode: 240
; IeeeMode: 1
; LDSByteSize: 0 bytes/workgroup (compile time only)
; SGPRBlocks: 2
; VGPRBlocks: 1
; NumSGPRsForWavesPerEU: 18
; NumVGPRsForWavesPerEU: 10
; Occupancy: 16
; WaveLimiterHint : 0
; COMPUTE_PGM_RSRC2:SCRATCH_EN: 0
; COMPUTE_PGM_RSRC2:USER_SGPR: 15
; COMPUTE_PGM_RSRC2:TRAP_HANDLER: 0
; COMPUTE_PGM_RSRC2:TGID_X_EN: 1
; COMPUTE_PGM_RSRC2:TGID_Y_EN: 0
; COMPUTE_PGM_RSRC2:TGID_Z_EN: 0
; COMPUTE_PGM_RSRC2:TIDIG_COMP_CNT: 0
	.section	.text._Z34thread_search_out_of_bounds_kernelItjN7rocprim17ROCPRIM_304000_NS7greaterItEEEvPT_S5_PT0_S7_S6_S6_T1_,"axG",@progbits,_Z34thread_search_out_of_bounds_kernelItjN7rocprim17ROCPRIM_304000_NS7greaterItEEEvPT_S5_PT0_S7_S6_S6_T1_,comdat
	.protected	_Z34thread_search_out_of_bounds_kernelItjN7rocprim17ROCPRIM_304000_NS7greaterItEEEvPT_S5_PT0_S7_S6_S6_T1_ ; -- Begin function _Z34thread_search_out_of_bounds_kernelItjN7rocprim17ROCPRIM_304000_NS7greaterItEEEvPT_S5_PT0_S7_S6_S6_T1_
	.globl	_Z34thread_search_out_of_bounds_kernelItjN7rocprim17ROCPRIM_304000_NS7greaterItEEEvPT_S5_PT0_S7_S6_S6_T1_
	.p2align	8
	.type	_Z34thread_search_out_of_bounds_kernelItjN7rocprim17ROCPRIM_304000_NS7greaterItEEEvPT_S5_PT0_S7_S6_S6_T1_,@function
_Z34thread_search_out_of_bounds_kernelItjN7rocprim17ROCPRIM_304000_NS7greaterItEEEvPT_S5_PT0_S7_S6_S6_T1_: ; @_Z34thread_search_out_of_bounds_kernelItjN7rocprim17ROCPRIM_304000_NS7greaterItEEEvPT_S5_PT0_S7_S6_S6_T1_
; %bb.0:
	s_clause 0x1
	s_load_b64 s[8:9], s[0:1], 0x20
	s_load_b256 s[0:7], s[0:1], 0x0
	s_waitcnt lgkmcnt(0)
	s_add_i32 s13, s9, s8
	s_delay_alu instid0(SALU_CYCLE_1) | instskip(NEXT) | instid1(SALU_CYCLE_1)
	s_add_i32 s12, s13, 1
	v_sub_nc_u32_e64 v0, s12, s9 clamp
	s_min_u32 s14, s12, s8
	s_delay_alu instid0(VALU_DEP_1) | instid1(SALU_CYCLE_1)
	v_cmp_le_u32_e32 vcc_lo, s14, v0
	v_readfirstlane_b32 s9, v0
	s_cbranch_vccnz .LBB103_3
; %bb.1:
	v_mov_b32_e32 v0, 0
	s_mov_b32 s11, 0
	.p2align	6
.LBB103_2:                              ; =>This Inner Loop Header: Depth=1
	s_delay_alu instid0(VALU_DEP_2) | instskip(NEXT) | instid1(SALU_CYCLE_1)
	s_add_i32 s10, s14, s9
	s_lshr_b32 s15, s10, 1
	s_and_b32 s16, s10, -2
	s_sub_i32 s10, s13, s15
	v_mov_b32_e32 v1, s16
	s_lshl_b64 s[16:17], s[10:11], 1
	s_delay_alu instid0(SALU_CYCLE_1)
	s_add_u32 s16, s2, s16
	s_addc_u32 s17, s3, s17
	global_load_u16 v1, v1, s[0:1]
	global_load_u16 v2, v0, s[16:17]
	s_add_i32 s17, s15, 1
	s_waitcnt vmcnt(1)
	v_readfirstlane_b32 s10, v1
	s_waitcnt vmcnt(0)
	v_readfirstlane_b32 s16, v2
	s_delay_alu instid0(VALU_DEP_1) | instskip(SKIP_2) | instid1(SALU_CYCLE_1)
	s_cmp_gt_u32 s16, s10
	s_cselect_b32 s14, s15, s14
	s_cselect_b32 s9, s9, s17
	s_cmp_lt_u32 s9, s14
	s_cbranch_scc1 .LBB103_2
.LBB103_3:
	s_delay_alu instid0(VALU_DEP_1)
	s_min_u32 s0, s9, s8
	s_sub_i32 s1, s12, s9
	v_dual_mov_b32 v0, 0 :: v_dual_mov_b32 v1, s0
	v_mov_b32_e32 v2, s1
	s_clause 0x1
	global_store_b32 v0, v1, s[4:5]
	global_store_b32 v0, v2, s[6:7]
	s_nop 0
	s_sendmsg sendmsg(MSG_DEALLOC_VGPRS)
	s_endpgm
	.section	.rodata,"a",@progbits
	.p2align	6, 0x0
	.amdhsa_kernel _Z34thread_search_out_of_bounds_kernelItjN7rocprim17ROCPRIM_304000_NS7greaterItEEEvPT_S5_PT0_S7_S6_S6_T1_
		.amdhsa_group_segment_fixed_size 0
		.amdhsa_private_segment_fixed_size 0
		.amdhsa_kernarg_size 44
		.amdhsa_user_sgpr_count 15
		.amdhsa_user_sgpr_dispatch_ptr 0
		.amdhsa_user_sgpr_queue_ptr 0
		.amdhsa_user_sgpr_kernarg_segment_ptr 1
		.amdhsa_user_sgpr_dispatch_id 0
		.amdhsa_user_sgpr_private_segment_size 0
		.amdhsa_wavefront_size32 1
		.amdhsa_uses_dynamic_stack 0
		.amdhsa_enable_private_segment 0
		.amdhsa_system_sgpr_workgroup_id_x 1
		.amdhsa_system_sgpr_workgroup_id_y 0
		.amdhsa_system_sgpr_workgroup_id_z 0
		.amdhsa_system_sgpr_workgroup_info 0
		.amdhsa_system_vgpr_workitem_id 0
		.amdhsa_next_free_vgpr 3
		.amdhsa_next_free_sgpr 18
		.amdhsa_reserve_vcc 1
		.amdhsa_float_round_mode_32 0
		.amdhsa_float_round_mode_16_64 0
		.amdhsa_float_denorm_mode_32 3
		.amdhsa_float_denorm_mode_16_64 3
		.amdhsa_dx10_clamp 1
		.amdhsa_ieee_mode 1
		.amdhsa_fp16_overflow 0
		.amdhsa_workgroup_processor_mode 1
		.amdhsa_memory_ordered 1
		.amdhsa_forward_progress 0
		.amdhsa_shared_vgpr_count 0
		.amdhsa_exception_fp_ieee_invalid_op 0
		.amdhsa_exception_fp_denorm_src 0
		.amdhsa_exception_fp_ieee_div_zero 0
		.amdhsa_exception_fp_ieee_overflow 0
		.amdhsa_exception_fp_ieee_underflow 0
		.amdhsa_exception_fp_ieee_inexact 0
		.amdhsa_exception_int_div_zero 0
	.end_amdhsa_kernel
	.section	.text._Z34thread_search_out_of_bounds_kernelItjN7rocprim17ROCPRIM_304000_NS7greaterItEEEvPT_S5_PT0_S7_S6_S6_T1_,"axG",@progbits,_Z34thread_search_out_of_bounds_kernelItjN7rocprim17ROCPRIM_304000_NS7greaterItEEEvPT_S5_PT0_S7_S6_S6_T1_,comdat
.Lfunc_end103:
	.size	_Z34thread_search_out_of_bounds_kernelItjN7rocprim17ROCPRIM_304000_NS7greaterItEEEvPT_S5_PT0_S7_S6_S6_T1_, .Lfunc_end103-_Z34thread_search_out_of_bounds_kernelItjN7rocprim17ROCPRIM_304000_NS7greaterItEEEvPT_S5_PT0_S7_S6_S6_T1_
                                        ; -- End function
	.section	.AMDGPU.csdata,"",@progbits
; Kernel info:
; codeLenInByte = 228
; NumSgprs: 20
; NumVgprs: 3
; ScratchSize: 0
; MemoryBound: 0
; FloatMode: 240
; IeeeMode: 1
; LDSByteSize: 0 bytes/workgroup (compile time only)
; SGPRBlocks: 2
; VGPRBlocks: 0
; NumSGPRsForWavesPerEU: 20
; NumVGPRsForWavesPerEU: 3
; Occupancy: 16
; WaveLimiterHint : 0
; COMPUTE_PGM_RSRC2:SCRATCH_EN: 0
; COMPUTE_PGM_RSRC2:USER_SGPR: 15
; COMPUTE_PGM_RSRC2:TRAP_HANDLER: 0
; COMPUTE_PGM_RSRC2:TGID_X_EN: 1
; COMPUTE_PGM_RSRC2:TGID_Y_EN: 0
; COMPUTE_PGM_RSRC2:TGID_Z_EN: 0
; COMPUTE_PGM_RSRC2:TIDIG_COMP_CNT: 0
	.section	.text._Z20thread_search_kernelIhjN7rocprim17ROCPRIM_304000_NS4lessIhEETnT0_Lj4EEvPT_S6_PS4_S7_S4_S4_T1_,"axG",@progbits,_Z20thread_search_kernelIhjN7rocprim17ROCPRIM_304000_NS4lessIhEETnT0_Lj4EEvPT_S6_PS4_S7_S4_S4_T1_,comdat
	.protected	_Z20thread_search_kernelIhjN7rocprim17ROCPRIM_304000_NS4lessIhEETnT0_Lj4EEvPT_S6_PS4_S7_S4_S4_T1_ ; -- Begin function _Z20thread_search_kernelIhjN7rocprim17ROCPRIM_304000_NS4lessIhEETnT0_Lj4EEvPT_S6_PS4_S7_S4_S4_T1_
	.globl	_Z20thread_search_kernelIhjN7rocprim17ROCPRIM_304000_NS4lessIhEETnT0_Lj4EEvPT_S6_PS4_S7_S4_S4_T1_
	.p2align	8
	.type	_Z20thread_search_kernelIhjN7rocprim17ROCPRIM_304000_NS4lessIhEETnT0_Lj4EEvPT_S6_PS4_S7_S4_S4_T1_,@function
_Z20thread_search_kernelIhjN7rocprim17ROCPRIM_304000_NS4lessIhEETnT0_Lj4EEvPT_S6_PS4_S7_S4_S4_T1_: ; @_Z20thread_search_kernelIhjN7rocprim17ROCPRIM_304000_NS4lessIhEETnT0_Lj4EEvPT_S6_PS4_S7_S4_S4_T1_
; %bb.0:
	s_clause 0x1
	s_load_b32 s2, s[0:1], 0x3c
	s_load_b64 s[8:9], s[0:1], 0x20
	s_waitcnt lgkmcnt(0)
	s_and_b32 s2, s2, 0xffff
	s_delay_alu instid0(SALU_CYCLE_1) | instskip(SKIP_1) | instid1(VALU_DEP_1)
	v_mad_u64_u32 v[1:2], null, s15, s2, v[0:1]
	s_load_b256 s[0:7], s[0:1], 0x0
	v_lshlrev_b32_e32 v0, 2, v1
	s_delay_alu instid0(VALU_DEP_1) | instskip(SKIP_2) | instid1(VALU_DEP_1)
	v_sub_nc_u32_e64 v3, v0, s9 clamp
	v_min_u32_e32 v2, s8, v0
	s_mov_b32 s9, exec_lo
	v_cmpx_lt_u32_e64 v3, v2
	s_cbranch_execz .LBB104_4
; %bb.1:
	s_mov_b32 s10, 0
.LBB104_2:                              ; =>This Inner Loop Header: Depth=1
	v_add_nc_u32_e32 v4, v2, v3
	s_delay_alu instid0(VALU_DEP_1) | instskip(NEXT) | instid1(VALU_DEP_1)
	v_lshrrev_b32_e32 v4, 1, v4
	v_xad_u32 v5, v4, -1, v0
	v_add_nc_u32_e32 v7, 1, v4
	s_waitcnt lgkmcnt(0)
	global_load_u8 v6, v4, s[0:1]
	global_load_u8 v5, v5, s[2:3]
	s_waitcnt vmcnt(0)
	v_cmp_lt_u16_e32 vcc_lo, v5, v6
	v_dual_cndmask_b32 v2, v2, v4 :: v_dual_cndmask_b32 v3, v7, v3
	s_delay_alu instid0(VALU_DEP_1) | instskip(SKIP_1) | instid1(SALU_CYCLE_1)
	v_cmp_ge_u32_e32 vcc_lo, v3, v2
	s_or_b32 s10, vcc_lo, s10
	s_and_not1_b32 exec_lo, exec_lo, s10
	s_cbranch_execnz .LBB104_2
; %bb.3:
	s_or_b32 exec_lo, exec_lo, s10
.LBB104_4:
	s_delay_alu instid0(SALU_CYCLE_1) | instskip(SKIP_3) | instid1(VALU_DEP_3)
	s_or_b32 exec_lo, exec_lo, s9
	v_mov_b32_e32 v2, 0
	v_min_u32_e32 v5, s8, v3
	v_sub_nc_u32_e32 v6, v0, v3
	v_lshlrev_b64 v[1:2], 2, v[1:2]
	s_waitcnt lgkmcnt(0)
	s_delay_alu instid0(VALU_DEP_1) | instskip(NEXT) | instid1(VALU_DEP_2)
	v_add_co_u32 v3, vcc_lo, s4, v1
	v_add_co_ci_u32_e32 v4, vcc_lo, s5, v2, vcc_lo
	v_add_co_u32 v0, vcc_lo, s6, v1
	v_add_co_ci_u32_e32 v1, vcc_lo, s7, v2, vcc_lo
	global_store_b32 v[3:4], v5, off
	global_store_b32 v[0:1], v6, off
	s_nop 0
	s_sendmsg sendmsg(MSG_DEALLOC_VGPRS)
	s_endpgm
	.section	.rodata,"a",@progbits
	.p2align	6, 0x0
	.amdhsa_kernel _Z20thread_search_kernelIhjN7rocprim17ROCPRIM_304000_NS4lessIhEETnT0_Lj4EEvPT_S6_PS4_S7_S4_S4_T1_
		.amdhsa_group_segment_fixed_size 0
		.amdhsa_private_segment_fixed_size 0
		.amdhsa_kernarg_size 304
		.amdhsa_user_sgpr_count 15
		.amdhsa_user_sgpr_dispatch_ptr 0
		.amdhsa_user_sgpr_queue_ptr 0
		.amdhsa_user_sgpr_kernarg_segment_ptr 1
		.amdhsa_user_sgpr_dispatch_id 0
		.amdhsa_user_sgpr_private_segment_size 0
		.amdhsa_wavefront_size32 1
		.amdhsa_uses_dynamic_stack 0
		.amdhsa_enable_private_segment 0
		.amdhsa_system_sgpr_workgroup_id_x 1
		.amdhsa_system_sgpr_workgroup_id_y 0
		.amdhsa_system_sgpr_workgroup_id_z 0
		.amdhsa_system_sgpr_workgroup_info 0
		.amdhsa_system_vgpr_workitem_id 0
		.amdhsa_next_free_vgpr 8
		.amdhsa_next_free_sgpr 16
		.amdhsa_reserve_vcc 1
		.amdhsa_float_round_mode_32 0
		.amdhsa_float_round_mode_16_64 0
		.amdhsa_float_denorm_mode_32 3
		.amdhsa_float_denorm_mode_16_64 3
		.amdhsa_dx10_clamp 1
		.amdhsa_ieee_mode 1
		.amdhsa_fp16_overflow 0
		.amdhsa_workgroup_processor_mode 1
		.amdhsa_memory_ordered 1
		.amdhsa_forward_progress 0
		.amdhsa_shared_vgpr_count 0
		.amdhsa_exception_fp_ieee_invalid_op 0
		.amdhsa_exception_fp_denorm_src 0
		.amdhsa_exception_fp_ieee_div_zero 0
		.amdhsa_exception_fp_ieee_overflow 0
		.amdhsa_exception_fp_ieee_underflow 0
		.amdhsa_exception_fp_ieee_inexact 0
		.amdhsa_exception_int_div_zero 0
	.end_amdhsa_kernel
	.section	.text._Z20thread_search_kernelIhjN7rocprim17ROCPRIM_304000_NS4lessIhEETnT0_Lj4EEvPT_S6_PS4_S7_S4_S4_T1_,"axG",@progbits,_Z20thread_search_kernelIhjN7rocprim17ROCPRIM_304000_NS4lessIhEETnT0_Lj4EEvPT_S6_PS4_S7_S4_S4_T1_,comdat
.Lfunc_end104:
	.size	_Z20thread_search_kernelIhjN7rocprim17ROCPRIM_304000_NS4lessIhEETnT0_Lj4EEvPT_S6_PS4_S7_S4_S4_T1_, .Lfunc_end104-_Z20thread_search_kernelIhjN7rocprim17ROCPRIM_304000_NS4lessIhEETnT0_Lj4EEvPT_S6_PS4_S7_S4_S4_T1_
                                        ; -- End function
	.section	.AMDGPU.csdata,"",@progbits
; Kernel info:
; codeLenInByte = 264
; NumSgprs: 18
; NumVgprs: 8
; ScratchSize: 0
; MemoryBound: 0
; FloatMode: 240
; IeeeMode: 1
; LDSByteSize: 0 bytes/workgroup (compile time only)
; SGPRBlocks: 2
; VGPRBlocks: 0
; NumSGPRsForWavesPerEU: 18
; NumVGPRsForWavesPerEU: 8
; Occupancy: 16
; WaveLimiterHint : 0
; COMPUTE_PGM_RSRC2:SCRATCH_EN: 0
; COMPUTE_PGM_RSRC2:USER_SGPR: 15
; COMPUTE_PGM_RSRC2:TRAP_HANDLER: 0
; COMPUTE_PGM_RSRC2:TGID_X_EN: 1
; COMPUTE_PGM_RSRC2:TGID_Y_EN: 0
; COMPUTE_PGM_RSRC2:TGID_Z_EN: 0
; COMPUTE_PGM_RSRC2:TIDIG_COMP_CNT: 0
	.section	.text._Z34thread_search_out_of_bounds_kernelIhjN7rocprim17ROCPRIM_304000_NS4lessIhEEEvPT_S5_PT0_S7_S6_S6_T1_,"axG",@progbits,_Z34thread_search_out_of_bounds_kernelIhjN7rocprim17ROCPRIM_304000_NS4lessIhEEEvPT_S5_PT0_S7_S6_S6_T1_,comdat
	.protected	_Z34thread_search_out_of_bounds_kernelIhjN7rocprim17ROCPRIM_304000_NS4lessIhEEEvPT_S5_PT0_S7_S6_S6_T1_ ; -- Begin function _Z34thread_search_out_of_bounds_kernelIhjN7rocprim17ROCPRIM_304000_NS4lessIhEEEvPT_S5_PT0_S7_S6_S6_T1_
	.globl	_Z34thread_search_out_of_bounds_kernelIhjN7rocprim17ROCPRIM_304000_NS4lessIhEEEvPT_S5_PT0_S7_S6_S6_T1_
	.p2align	8
	.type	_Z34thread_search_out_of_bounds_kernelIhjN7rocprim17ROCPRIM_304000_NS4lessIhEEEvPT_S5_PT0_S7_S6_S6_T1_,@function
_Z34thread_search_out_of_bounds_kernelIhjN7rocprim17ROCPRIM_304000_NS4lessIhEEEvPT_S5_PT0_S7_S6_S6_T1_: ; @_Z34thread_search_out_of_bounds_kernelIhjN7rocprim17ROCPRIM_304000_NS4lessIhEEEvPT_S5_PT0_S7_S6_S6_T1_
; %bb.0:
	s_clause 0x1
	s_load_b64 s[8:9], s[0:1], 0x20
	s_load_b256 s[0:7], s[0:1], 0x0
	s_waitcnt lgkmcnt(0)
	s_add_i32 s11, s9, s8
	s_delay_alu instid0(SALU_CYCLE_1) | instskip(NEXT) | instid1(SALU_CYCLE_1)
	s_add_i32 s10, s11, 1
	v_sub_nc_u32_e64 v0, s10, s9 clamp
	s_min_u32 s12, s10, s8
	s_delay_alu instid0(VALU_DEP_1) | instid1(SALU_CYCLE_1)
	v_cmp_le_u32_e32 vcc_lo, s12, v0
	v_readfirstlane_b32 s9, v0
	s_cbranch_vccnz .LBB105_2
	.p2align	6
.LBB105_1:                              ; =>This Inner Loop Header: Depth=1
	s_delay_alu instid0(VALU_DEP_1) | instskip(NEXT) | instid1(SALU_CYCLE_1)
	s_add_i32 s13, s12, s9
	s_lshr_b32 s13, s13, 1
	s_delay_alu instid0(SALU_CYCLE_1) | instskip(NEXT) | instid1(SALU_CYCLE_1)
	s_sub_i32 s14, s11, s13
	v_dual_mov_b32 v0, s13 :: v_dual_mov_b32 v1, s14
	s_add_i32 s16, s13, 1
	global_load_u8 v0, v0, s[0:1]
	global_load_u8 v1, v1, s[2:3]
	s_waitcnt vmcnt(1)
	v_readfirstlane_b32 s14, v0
	s_waitcnt vmcnt(0)
	v_readfirstlane_b32 s15, v1
	s_delay_alu instid0(VALU_DEP_1) | instskip(SKIP_2) | instid1(SALU_CYCLE_1)
	s_cmp_lt_u32 s15, s14
	s_cselect_b32 s12, s13, s12
	s_cselect_b32 s9, s9, s16
	s_cmp_lt_u32 s9, s12
	s_cbranch_scc1 .LBB105_1
.LBB105_2:
	s_delay_alu instid0(VALU_DEP_1)
	s_min_u32 s0, s9, s8
	s_sub_i32 s1, s10, s9
	v_dual_mov_b32 v0, 0 :: v_dual_mov_b32 v1, s0
	v_mov_b32_e32 v2, s1
	s_clause 0x1
	global_store_b32 v0, v1, s[4:5]
	global_store_b32 v0, v2, s[6:7]
	s_nop 0
	s_sendmsg sendmsg(MSG_DEALLOC_VGPRS)
	s_endpgm
	.section	.rodata,"a",@progbits
	.p2align	6, 0x0
	.amdhsa_kernel _Z34thread_search_out_of_bounds_kernelIhjN7rocprim17ROCPRIM_304000_NS4lessIhEEEvPT_S5_PT0_S7_S6_S6_T1_
		.amdhsa_group_segment_fixed_size 0
		.amdhsa_private_segment_fixed_size 0
		.amdhsa_kernarg_size 44
		.amdhsa_user_sgpr_count 15
		.amdhsa_user_sgpr_dispatch_ptr 0
		.amdhsa_user_sgpr_queue_ptr 0
		.amdhsa_user_sgpr_kernarg_segment_ptr 1
		.amdhsa_user_sgpr_dispatch_id 0
		.amdhsa_user_sgpr_private_segment_size 0
		.amdhsa_wavefront_size32 1
		.amdhsa_uses_dynamic_stack 0
		.amdhsa_enable_private_segment 0
		.amdhsa_system_sgpr_workgroup_id_x 1
		.amdhsa_system_sgpr_workgroup_id_y 0
		.amdhsa_system_sgpr_workgroup_id_z 0
		.amdhsa_system_sgpr_workgroup_info 0
		.amdhsa_system_vgpr_workitem_id 0
		.amdhsa_next_free_vgpr 3
		.amdhsa_next_free_sgpr 17
		.amdhsa_reserve_vcc 1
		.amdhsa_float_round_mode_32 0
		.amdhsa_float_round_mode_16_64 0
		.amdhsa_float_denorm_mode_32 3
		.amdhsa_float_denorm_mode_16_64 3
		.amdhsa_dx10_clamp 1
		.amdhsa_ieee_mode 1
		.amdhsa_fp16_overflow 0
		.amdhsa_workgroup_processor_mode 1
		.amdhsa_memory_ordered 1
		.amdhsa_forward_progress 0
		.amdhsa_shared_vgpr_count 0
		.amdhsa_exception_fp_ieee_invalid_op 0
		.amdhsa_exception_fp_denorm_src 0
		.amdhsa_exception_fp_ieee_div_zero 0
		.amdhsa_exception_fp_ieee_overflow 0
		.amdhsa_exception_fp_ieee_underflow 0
		.amdhsa_exception_fp_ieee_inexact 0
		.amdhsa_exception_int_div_zero 0
	.end_amdhsa_kernel
	.section	.text._Z34thread_search_out_of_bounds_kernelIhjN7rocprim17ROCPRIM_304000_NS4lessIhEEEvPT_S5_PT0_S7_S6_S6_T1_,"axG",@progbits,_Z34thread_search_out_of_bounds_kernelIhjN7rocprim17ROCPRIM_304000_NS4lessIhEEEvPT_S5_PT0_S7_S6_S6_T1_,comdat
.Lfunc_end105:
	.size	_Z34thread_search_out_of_bounds_kernelIhjN7rocprim17ROCPRIM_304000_NS4lessIhEEEvPT_S5_PT0_S7_S6_S6_T1_, .Lfunc_end105-_Z34thread_search_out_of_bounds_kernelIhjN7rocprim17ROCPRIM_304000_NS4lessIhEEEvPT_S5_PT0_S7_S6_S6_T1_
                                        ; -- End function
	.section	.AMDGPU.csdata,"",@progbits
; Kernel info:
; codeLenInByte = 208
; NumSgprs: 19
; NumVgprs: 3
; ScratchSize: 0
; MemoryBound: 0
; FloatMode: 240
; IeeeMode: 1
; LDSByteSize: 0 bytes/workgroup (compile time only)
; SGPRBlocks: 2
; VGPRBlocks: 0
; NumSGPRsForWavesPerEU: 19
; NumVGPRsForWavesPerEU: 3
; Occupancy: 16
; WaveLimiterHint : 0
; COMPUTE_PGM_RSRC2:SCRATCH_EN: 0
; COMPUTE_PGM_RSRC2:USER_SGPR: 15
; COMPUTE_PGM_RSRC2:TRAP_HANDLER: 0
; COMPUTE_PGM_RSRC2:TGID_X_EN: 1
; COMPUTE_PGM_RSRC2:TGID_Y_EN: 0
; COMPUTE_PGM_RSRC2:TGID_Z_EN: 0
; COMPUTE_PGM_RSRC2:TIDIG_COMP_CNT: 0
	.section	.text._Z20thread_search_kernelIhjN7rocprim17ROCPRIM_304000_NS7greaterIhEETnT0_Lj4EEvPT_S6_PS4_S7_S4_S4_T1_,"axG",@progbits,_Z20thread_search_kernelIhjN7rocprim17ROCPRIM_304000_NS7greaterIhEETnT0_Lj4EEvPT_S6_PS4_S7_S4_S4_T1_,comdat
	.protected	_Z20thread_search_kernelIhjN7rocprim17ROCPRIM_304000_NS7greaterIhEETnT0_Lj4EEvPT_S6_PS4_S7_S4_S4_T1_ ; -- Begin function _Z20thread_search_kernelIhjN7rocprim17ROCPRIM_304000_NS7greaterIhEETnT0_Lj4EEvPT_S6_PS4_S7_S4_S4_T1_
	.globl	_Z20thread_search_kernelIhjN7rocprim17ROCPRIM_304000_NS7greaterIhEETnT0_Lj4EEvPT_S6_PS4_S7_S4_S4_T1_
	.p2align	8
	.type	_Z20thread_search_kernelIhjN7rocprim17ROCPRIM_304000_NS7greaterIhEETnT0_Lj4EEvPT_S6_PS4_S7_S4_S4_T1_,@function
_Z20thread_search_kernelIhjN7rocprim17ROCPRIM_304000_NS7greaterIhEETnT0_Lj4EEvPT_S6_PS4_S7_S4_S4_T1_: ; @_Z20thread_search_kernelIhjN7rocprim17ROCPRIM_304000_NS7greaterIhEETnT0_Lj4EEvPT_S6_PS4_S7_S4_S4_T1_
; %bb.0:
	s_clause 0x1
	s_load_b32 s2, s[0:1], 0x3c
	s_load_b64 s[8:9], s[0:1], 0x20
	s_waitcnt lgkmcnt(0)
	s_and_b32 s2, s2, 0xffff
	s_delay_alu instid0(SALU_CYCLE_1) | instskip(SKIP_1) | instid1(VALU_DEP_1)
	v_mad_u64_u32 v[1:2], null, s15, s2, v[0:1]
	s_load_b256 s[0:7], s[0:1], 0x0
	v_lshlrev_b32_e32 v0, 2, v1
	s_delay_alu instid0(VALU_DEP_1) | instskip(SKIP_2) | instid1(VALU_DEP_1)
	v_sub_nc_u32_e64 v3, v0, s9 clamp
	v_min_u32_e32 v2, s8, v0
	s_mov_b32 s9, exec_lo
	v_cmpx_lt_u32_e64 v3, v2
	s_cbranch_execz .LBB106_4
; %bb.1:
	s_mov_b32 s10, 0
.LBB106_2:                              ; =>This Inner Loop Header: Depth=1
	v_add_nc_u32_e32 v4, v2, v3
	s_delay_alu instid0(VALU_DEP_1) | instskip(NEXT) | instid1(VALU_DEP_1)
	v_lshrrev_b32_e32 v4, 1, v4
	v_xad_u32 v5, v4, -1, v0
	v_add_nc_u32_e32 v7, 1, v4
	s_waitcnt lgkmcnt(0)
	global_load_u8 v6, v4, s[0:1]
	global_load_u8 v5, v5, s[2:3]
	s_waitcnt vmcnt(0)
	v_cmp_gt_u16_e32 vcc_lo, v5, v6
	v_dual_cndmask_b32 v2, v2, v4 :: v_dual_cndmask_b32 v3, v7, v3
	s_delay_alu instid0(VALU_DEP_1) | instskip(SKIP_1) | instid1(SALU_CYCLE_1)
	v_cmp_ge_u32_e32 vcc_lo, v3, v2
	s_or_b32 s10, vcc_lo, s10
	s_and_not1_b32 exec_lo, exec_lo, s10
	s_cbranch_execnz .LBB106_2
; %bb.3:
	s_or_b32 exec_lo, exec_lo, s10
.LBB106_4:
	s_delay_alu instid0(SALU_CYCLE_1) | instskip(SKIP_3) | instid1(VALU_DEP_3)
	s_or_b32 exec_lo, exec_lo, s9
	v_mov_b32_e32 v2, 0
	v_min_u32_e32 v5, s8, v3
	v_sub_nc_u32_e32 v6, v0, v3
	v_lshlrev_b64 v[1:2], 2, v[1:2]
	s_waitcnt lgkmcnt(0)
	s_delay_alu instid0(VALU_DEP_1) | instskip(NEXT) | instid1(VALU_DEP_2)
	v_add_co_u32 v3, vcc_lo, s4, v1
	v_add_co_ci_u32_e32 v4, vcc_lo, s5, v2, vcc_lo
	v_add_co_u32 v0, vcc_lo, s6, v1
	v_add_co_ci_u32_e32 v1, vcc_lo, s7, v2, vcc_lo
	global_store_b32 v[3:4], v5, off
	global_store_b32 v[0:1], v6, off
	s_nop 0
	s_sendmsg sendmsg(MSG_DEALLOC_VGPRS)
	s_endpgm
	.section	.rodata,"a",@progbits
	.p2align	6, 0x0
	.amdhsa_kernel _Z20thread_search_kernelIhjN7rocprim17ROCPRIM_304000_NS7greaterIhEETnT0_Lj4EEvPT_S6_PS4_S7_S4_S4_T1_
		.amdhsa_group_segment_fixed_size 0
		.amdhsa_private_segment_fixed_size 0
		.amdhsa_kernarg_size 304
		.amdhsa_user_sgpr_count 15
		.amdhsa_user_sgpr_dispatch_ptr 0
		.amdhsa_user_sgpr_queue_ptr 0
		.amdhsa_user_sgpr_kernarg_segment_ptr 1
		.amdhsa_user_sgpr_dispatch_id 0
		.amdhsa_user_sgpr_private_segment_size 0
		.amdhsa_wavefront_size32 1
		.amdhsa_uses_dynamic_stack 0
		.amdhsa_enable_private_segment 0
		.amdhsa_system_sgpr_workgroup_id_x 1
		.amdhsa_system_sgpr_workgroup_id_y 0
		.amdhsa_system_sgpr_workgroup_id_z 0
		.amdhsa_system_sgpr_workgroup_info 0
		.amdhsa_system_vgpr_workitem_id 0
		.amdhsa_next_free_vgpr 8
		.amdhsa_next_free_sgpr 16
		.amdhsa_reserve_vcc 1
		.amdhsa_float_round_mode_32 0
		.amdhsa_float_round_mode_16_64 0
		.amdhsa_float_denorm_mode_32 3
		.amdhsa_float_denorm_mode_16_64 3
		.amdhsa_dx10_clamp 1
		.amdhsa_ieee_mode 1
		.amdhsa_fp16_overflow 0
		.amdhsa_workgroup_processor_mode 1
		.amdhsa_memory_ordered 1
		.amdhsa_forward_progress 0
		.amdhsa_shared_vgpr_count 0
		.amdhsa_exception_fp_ieee_invalid_op 0
		.amdhsa_exception_fp_denorm_src 0
		.amdhsa_exception_fp_ieee_div_zero 0
		.amdhsa_exception_fp_ieee_overflow 0
		.amdhsa_exception_fp_ieee_underflow 0
		.amdhsa_exception_fp_ieee_inexact 0
		.amdhsa_exception_int_div_zero 0
	.end_amdhsa_kernel
	.section	.text._Z20thread_search_kernelIhjN7rocprim17ROCPRIM_304000_NS7greaterIhEETnT0_Lj4EEvPT_S6_PS4_S7_S4_S4_T1_,"axG",@progbits,_Z20thread_search_kernelIhjN7rocprim17ROCPRIM_304000_NS7greaterIhEETnT0_Lj4EEvPT_S6_PS4_S7_S4_S4_T1_,comdat
.Lfunc_end106:
	.size	_Z20thread_search_kernelIhjN7rocprim17ROCPRIM_304000_NS7greaterIhEETnT0_Lj4EEvPT_S6_PS4_S7_S4_S4_T1_, .Lfunc_end106-_Z20thread_search_kernelIhjN7rocprim17ROCPRIM_304000_NS7greaterIhEETnT0_Lj4EEvPT_S6_PS4_S7_S4_S4_T1_
                                        ; -- End function
	.section	.AMDGPU.csdata,"",@progbits
; Kernel info:
; codeLenInByte = 264
; NumSgprs: 18
; NumVgprs: 8
; ScratchSize: 0
; MemoryBound: 0
; FloatMode: 240
; IeeeMode: 1
; LDSByteSize: 0 bytes/workgroup (compile time only)
; SGPRBlocks: 2
; VGPRBlocks: 0
; NumSGPRsForWavesPerEU: 18
; NumVGPRsForWavesPerEU: 8
; Occupancy: 16
; WaveLimiterHint : 0
; COMPUTE_PGM_RSRC2:SCRATCH_EN: 0
; COMPUTE_PGM_RSRC2:USER_SGPR: 15
; COMPUTE_PGM_RSRC2:TRAP_HANDLER: 0
; COMPUTE_PGM_RSRC2:TGID_X_EN: 1
; COMPUTE_PGM_RSRC2:TGID_Y_EN: 0
; COMPUTE_PGM_RSRC2:TGID_Z_EN: 0
; COMPUTE_PGM_RSRC2:TIDIG_COMP_CNT: 0
	.section	.text._Z34thread_search_out_of_bounds_kernelIhjN7rocprim17ROCPRIM_304000_NS7greaterIhEEEvPT_S5_PT0_S7_S6_S6_T1_,"axG",@progbits,_Z34thread_search_out_of_bounds_kernelIhjN7rocprim17ROCPRIM_304000_NS7greaterIhEEEvPT_S5_PT0_S7_S6_S6_T1_,comdat
	.protected	_Z34thread_search_out_of_bounds_kernelIhjN7rocprim17ROCPRIM_304000_NS7greaterIhEEEvPT_S5_PT0_S7_S6_S6_T1_ ; -- Begin function _Z34thread_search_out_of_bounds_kernelIhjN7rocprim17ROCPRIM_304000_NS7greaterIhEEEvPT_S5_PT0_S7_S6_S6_T1_
	.globl	_Z34thread_search_out_of_bounds_kernelIhjN7rocprim17ROCPRIM_304000_NS7greaterIhEEEvPT_S5_PT0_S7_S6_S6_T1_
	.p2align	8
	.type	_Z34thread_search_out_of_bounds_kernelIhjN7rocprim17ROCPRIM_304000_NS7greaterIhEEEvPT_S5_PT0_S7_S6_S6_T1_,@function
_Z34thread_search_out_of_bounds_kernelIhjN7rocprim17ROCPRIM_304000_NS7greaterIhEEEvPT_S5_PT0_S7_S6_S6_T1_: ; @_Z34thread_search_out_of_bounds_kernelIhjN7rocprim17ROCPRIM_304000_NS7greaterIhEEEvPT_S5_PT0_S7_S6_S6_T1_
; %bb.0:
	s_clause 0x1
	s_load_b64 s[8:9], s[0:1], 0x20
	s_load_b256 s[0:7], s[0:1], 0x0
	s_waitcnt lgkmcnt(0)
	s_add_i32 s11, s9, s8
	s_delay_alu instid0(SALU_CYCLE_1) | instskip(NEXT) | instid1(SALU_CYCLE_1)
	s_add_i32 s10, s11, 1
	v_sub_nc_u32_e64 v0, s10, s9 clamp
	s_min_u32 s12, s10, s8
	s_delay_alu instid0(VALU_DEP_1) | instid1(SALU_CYCLE_1)
	v_cmp_le_u32_e32 vcc_lo, s12, v0
	v_readfirstlane_b32 s9, v0
	s_cbranch_vccnz .LBB107_2
	.p2align	6
.LBB107_1:                              ; =>This Inner Loop Header: Depth=1
	s_delay_alu instid0(VALU_DEP_1) | instskip(NEXT) | instid1(SALU_CYCLE_1)
	s_add_i32 s13, s12, s9
	s_lshr_b32 s13, s13, 1
	s_delay_alu instid0(SALU_CYCLE_1) | instskip(NEXT) | instid1(SALU_CYCLE_1)
	s_sub_i32 s14, s11, s13
	v_dual_mov_b32 v0, s13 :: v_dual_mov_b32 v1, s14
	s_add_i32 s16, s13, 1
	global_load_u8 v0, v0, s[0:1]
	global_load_u8 v1, v1, s[2:3]
	s_waitcnt vmcnt(1)
	v_readfirstlane_b32 s14, v0
	s_waitcnt vmcnt(0)
	v_readfirstlane_b32 s15, v1
	s_delay_alu instid0(VALU_DEP_1) | instskip(SKIP_2) | instid1(SALU_CYCLE_1)
	s_cmp_gt_u32 s15, s14
	s_cselect_b32 s12, s13, s12
	s_cselect_b32 s9, s9, s16
	s_cmp_lt_u32 s9, s12
	s_cbranch_scc1 .LBB107_1
.LBB107_2:
	s_delay_alu instid0(VALU_DEP_1)
	s_min_u32 s0, s9, s8
	s_sub_i32 s1, s10, s9
	v_dual_mov_b32 v0, 0 :: v_dual_mov_b32 v1, s0
	v_mov_b32_e32 v2, s1
	s_clause 0x1
	global_store_b32 v0, v1, s[4:5]
	global_store_b32 v0, v2, s[6:7]
	s_nop 0
	s_sendmsg sendmsg(MSG_DEALLOC_VGPRS)
	s_endpgm
	.section	.rodata,"a",@progbits
	.p2align	6, 0x0
	.amdhsa_kernel _Z34thread_search_out_of_bounds_kernelIhjN7rocprim17ROCPRIM_304000_NS7greaterIhEEEvPT_S5_PT0_S7_S6_S6_T1_
		.amdhsa_group_segment_fixed_size 0
		.amdhsa_private_segment_fixed_size 0
		.amdhsa_kernarg_size 44
		.amdhsa_user_sgpr_count 15
		.amdhsa_user_sgpr_dispatch_ptr 0
		.amdhsa_user_sgpr_queue_ptr 0
		.amdhsa_user_sgpr_kernarg_segment_ptr 1
		.amdhsa_user_sgpr_dispatch_id 0
		.amdhsa_user_sgpr_private_segment_size 0
		.amdhsa_wavefront_size32 1
		.amdhsa_uses_dynamic_stack 0
		.amdhsa_enable_private_segment 0
		.amdhsa_system_sgpr_workgroup_id_x 1
		.amdhsa_system_sgpr_workgroup_id_y 0
		.amdhsa_system_sgpr_workgroup_id_z 0
		.amdhsa_system_sgpr_workgroup_info 0
		.amdhsa_system_vgpr_workitem_id 0
		.amdhsa_next_free_vgpr 3
		.amdhsa_next_free_sgpr 17
		.amdhsa_reserve_vcc 1
		.amdhsa_float_round_mode_32 0
		.amdhsa_float_round_mode_16_64 0
		.amdhsa_float_denorm_mode_32 3
		.amdhsa_float_denorm_mode_16_64 3
		.amdhsa_dx10_clamp 1
		.amdhsa_ieee_mode 1
		.amdhsa_fp16_overflow 0
		.amdhsa_workgroup_processor_mode 1
		.amdhsa_memory_ordered 1
		.amdhsa_forward_progress 0
		.amdhsa_shared_vgpr_count 0
		.amdhsa_exception_fp_ieee_invalid_op 0
		.amdhsa_exception_fp_denorm_src 0
		.amdhsa_exception_fp_ieee_div_zero 0
		.amdhsa_exception_fp_ieee_overflow 0
		.amdhsa_exception_fp_ieee_underflow 0
		.amdhsa_exception_fp_ieee_inexact 0
		.amdhsa_exception_int_div_zero 0
	.end_amdhsa_kernel
	.section	.text._Z34thread_search_out_of_bounds_kernelIhjN7rocprim17ROCPRIM_304000_NS7greaterIhEEEvPT_S5_PT0_S7_S6_S6_T1_,"axG",@progbits,_Z34thread_search_out_of_bounds_kernelIhjN7rocprim17ROCPRIM_304000_NS7greaterIhEEEvPT_S5_PT0_S7_S6_S6_T1_,comdat
.Lfunc_end107:
	.size	_Z34thread_search_out_of_bounds_kernelIhjN7rocprim17ROCPRIM_304000_NS7greaterIhEEEvPT_S5_PT0_S7_S6_S6_T1_, .Lfunc_end107-_Z34thread_search_out_of_bounds_kernelIhjN7rocprim17ROCPRIM_304000_NS7greaterIhEEEvPT_S5_PT0_S7_S6_S6_T1_
                                        ; -- End function
	.section	.AMDGPU.csdata,"",@progbits
; Kernel info:
; codeLenInByte = 208
; NumSgprs: 19
; NumVgprs: 3
; ScratchSize: 0
; MemoryBound: 0
; FloatMode: 240
; IeeeMode: 1
; LDSByteSize: 0 bytes/workgroup (compile time only)
; SGPRBlocks: 2
; VGPRBlocks: 0
; NumSGPRsForWavesPerEU: 19
; NumVGPRsForWavesPerEU: 3
; Occupancy: 16
; WaveLimiterHint : 0
; COMPUTE_PGM_RSRC2:SCRATCH_EN: 0
; COMPUTE_PGM_RSRC2:USER_SGPR: 15
; COMPUTE_PGM_RSRC2:TRAP_HANDLER: 0
; COMPUTE_PGM_RSRC2:TGID_X_EN: 1
; COMPUTE_PGM_RSRC2:TGID_Y_EN: 0
; COMPUTE_PGM_RSRC2:TGID_Z_EN: 0
; COMPUTE_PGM_RSRC2:TIDIG_COMP_CNT: 0
	.text
	.p2alignl 7, 3214868480
	.fill 96, 4, 3214868480
	.type	__hip_cuid_fbe2ae227c04b750,@object ; @__hip_cuid_fbe2ae227c04b750
	.section	.bss,"aw",@nobits
	.globl	__hip_cuid_fbe2ae227c04b750
__hip_cuid_fbe2ae227c04b750:
	.byte	0                               ; 0x0
	.size	__hip_cuid_fbe2ae227c04b750, 1

	.ident	"AMD clang version 19.0.0git (https://github.com/RadeonOpenCompute/llvm-project roc-6.4.0 25133 c7fe45cf4b819c5991fe208aaa96edf142730f1d)"
	.section	".note.GNU-stack","",@progbits
	.addrsig
	.addrsig_sym __hip_cuid_fbe2ae227c04b750
	.amdgpu_metadata
---
amdhsa.kernels:
  - .args:
      - .address_space:  global
        .offset:         0
        .size:           8
        .value_kind:     global_buffer
      - .address_space:  global
        .offset:         8
        .size:           8
        .value_kind:     global_buffer
      - .offset:         16
        .size:           4
        .value_kind:     hidden_block_count_x
      - .offset:         20
        .size:           4
        .value_kind:     hidden_block_count_y
      - .offset:         24
        .size:           4
        .value_kind:     hidden_block_count_z
      - .offset:         28
        .size:           2
        .value_kind:     hidden_group_size_x
      - .offset:         30
        .size:           2
        .value_kind:     hidden_group_size_y
      - .offset:         32
        .size:           2
        .value_kind:     hidden_group_size_z
      - .offset:         34
        .size:           2
        .value_kind:     hidden_remainder_x
      - .offset:         36
        .size:           2
        .value_kind:     hidden_remainder_y
      - .offset:         38
        .size:           2
        .value_kind:     hidden_remainder_z
      - .offset:         56
        .size:           8
        .value_kind:     hidden_global_offset_x
      - .offset:         64
        .size:           8
        .value_kind:     hidden_global_offset_y
      - .offset:         72
        .size:           8
        .value_kind:     hidden_global_offset_z
      - .offset:         80
        .size:           2
        .value_kind:     hidden_grid_dims
    .group_segment_fixed_size: 0
    .kernarg_segment_align: 8
    .kernarg_segment_size: 272
    .language:       OpenCL C
    .language_version:
      - 2
      - 0
    .max_flat_workgroup_size: 1024
    .name:           _Z18thread_load_kernelIoEvPT_S1_
    .private_segment_fixed_size: 16
    .sgpr_count:     18
    .sgpr_spill_count: 0
    .symbol:         _Z18thread_load_kernelIoEvPT_S1_.kd
    .uniform_work_group_size: 1
    .uses_dynamic_stack: false
    .vgpr_count:     10
    .vgpr_spill_count: 0
    .wavefront_size: 32
    .workgroup_processor_mode: 1
  - .args:
      - .address_space:  global
        .offset:         0
        .size:           8
        .value_kind:     global_buffer
      - .address_space:  global
        .offset:         8
        .size:           8
        .value_kind:     global_buffer
      - .offset:         16
        .size:           4
        .value_kind:     hidden_block_count_x
      - .offset:         20
        .size:           4
        .value_kind:     hidden_block_count_y
      - .offset:         24
        .size:           4
        .value_kind:     hidden_block_count_z
      - .offset:         28
        .size:           2
        .value_kind:     hidden_group_size_x
      - .offset:         30
        .size:           2
        .value_kind:     hidden_group_size_y
      - .offset:         32
        .size:           2
        .value_kind:     hidden_group_size_z
      - .offset:         34
        .size:           2
        .value_kind:     hidden_remainder_x
      - .offset:         36
        .size:           2
        .value_kind:     hidden_remainder_y
      - .offset:         38
        .size:           2
        .value_kind:     hidden_remainder_z
      - .offset:         56
        .size:           8
        .value_kind:     hidden_global_offset_x
      - .offset:         64
        .size:           8
        .value_kind:     hidden_global_offset_y
      - .offset:         72
        .size:           8
        .value_kind:     hidden_global_offset_z
      - .offset:         80
        .size:           2
        .value_kind:     hidden_grid_dims
    .group_segment_fixed_size: 0
    .kernarg_segment_align: 8
    .kernarg_segment_size: 272
    .language:       OpenCL C
    .language_version:
      - 2
      - 0
    .max_flat_workgroup_size: 1024
    .name:           _Z18thread_load_kernelIN6common11custom_typeIddLb1EEEEvPT_S4_
    .private_segment_fixed_size: 16
    .sgpr_count:     16
    .sgpr_spill_count: 0
    .symbol:         _Z18thread_load_kernelIN6common11custom_typeIddLb1EEEEvPT_S4_.kd
    .uniform_work_group_size: 1
    .uses_dynamic_stack: false
    .vgpr_count:     8
    .vgpr_spill_count: 0
    .wavefront_size: 32
    .workgroup_processor_mode: 1
  - .args:
      - .address_space:  global
        .offset:         0
        .size:           8
        .value_kind:     global_buffer
      - .address_space:  global
        .offset:         8
        .size:           8
        .value_kind:     global_buffer
      - .offset:         16
        .size:           4
        .value_kind:     hidden_block_count_x
      - .offset:         20
        .size:           4
        .value_kind:     hidden_block_count_y
      - .offset:         24
        .size:           4
        .value_kind:     hidden_block_count_z
      - .offset:         28
        .size:           2
        .value_kind:     hidden_group_size_x
      - .offset:         30
        .size:           2
        .value_kind:     hidden_group_size_y
      - .offset:         32
        .size:           2
        .value_kind:     hidden_group_size_z
      - .offset:         34
        .size:           2
        .value_kind:     hidden_remainder_x
      - .offset:         36
        .size:           2
        .value_kind:     hidden_remainder_y
      - .offset:         38
        .size:           2
        .value_kind:     hidden_remainder_z
      - .offset:         56
        .size:           8
        .value_kind:     hidden_global_offset_x
      - .offset:         64
        .size:           8
        .value_kind:     hidden_global_offset_y
      - .offset:         72
        .size:           8
        .value_kind:     hidden_global_offset_z
      - .offset:         80
        .size:           2
        .value_kind:     hidden_grid_dims
    .group_segment_fixed_size: 0
    .kernarg_segment_align: 8
    .kernarg_segment_size: 272
    .language:       OpenCL C
    .language_version:
      - 2
      - 0
    .max_flat_workgroup_size: 1024
    .name:           _Z18thread_load_kernelIN6common11custom_typeImmLb1EEEEvPT_S4_
    .private_segment_fixed_size: 16
    .sgpr_count:     18
    .sgpr_spill_count: 0
    .symbol:         _Z18thread_load_kernelIN6common11custom_typeImmLb1EEEEvPT_S4_.kd
    .uniform_work_group_size: 1
    .uses_dynamic_stack: false
    .vgpr_count:     10
    .vgpr_spill_count: 0
    .wavefront_size: 32
    .workgroup_processor_mode: 1
  - .args:
      - .address_space:  global
        .offset:         0
        .size:           8
        .value_kind:     global_buffer
      - .address_space:  global
        .offset:         8
        .size:           8
        .value_kind:     global_buffer
      - .offset:         16
        .size:           4
        .value_kind:     hidden_block_count_x
      - .offset:         20
        .size:           4
        .value_kind:     hidden_block_count_y
      - .offset:         24
        .size:           4
        .value_kind:     hidden_block_count_z
      - .offset:         28
        .size:           2
        .value_kind:     hidden_group_size_x
      - .offset:         30
        .size:           2
        .value_kind:     hidden_group_size_y
      - .offset:         32
        .size:           2
        .value_kind:     hidden_group_size_z
      - .offset:         34
        .size:           2
        .value_kind:     hidden_remainder_x
      - .offset:         36
        .size:           2
        .value_kind:     hidden_remainder_y
      - .offset:         38
        .size:           2
        .value_kind:     hidden_remainder_z
      - .offset:         56
        .size:           8
        .value_kind:     hidden_global_offset_x
      - .offset:         64
        .size:           8
        .value_kind:     hidden_global_offset_y
      - .offset:         72
        .size:           8
        .value_kind:     hidden_global_offset_z
      - .offset:         80
        .size:           2
        .value_kind:     hidden_grid_dims
    .group_segment_fixed_size: 0
    .kernarg_segment_align: 8
    .kernarg_segment_size: 272
    .language:       OpenCL C
    .language_version:
      - 2
      - 0
    .max_flat_workgroup_size: 1024
    .name:           _Z18thread_load_kernelIdEvPT_S1_
    .private_segment_fixed_size: 16
    .sgpr_count:     16
    .sgpr_spill_count: 0
    .symbol:         _Z18thread_load_kernelIdEvPT_S1_.kd
    .uniform_work_group_size: 1
    .uses_dynamic_stack: false
    .vgpr_count:     8
    .vgpr_spill_count: 0
    .wavefront_size: 32
    .workgroup_processor_mode: 1
  - .args:
      - .address_space:  global
        .offset:         0
        .size:           8
        .value_kind:     global_buffer
      - .address_space:  global
        .offset:         8
        .size:           8
        .value_kind:     global_buffer
      - .offset:         16
        .size:           4
        .value_kind:     hidden_block_count_x
      - .offset:         20
        .size:           4
        .value_kind:     hidden_block_count_y
      - .offset:         24
        .size:           4
        .value_kind:     hidden_block_count_z
      - .offset:         28
        .size:           2
        .value_kind:     hidden_group_size_x
      - .offset:         30
        .size:           2
        .value_kind:     hidden_group_size_y
      - .offset:         32
        .size:           2
        .value_kind:     hidden_group_size_z
      - .offset:         34
        .size:           2
        .value_kind:     hidden_remainder_x
      - .offset:         36
        .size:           2
        .value_kind:     hidden_remainder_y
      - .offset:         38
        .size:           2
        .value_kind:     hidden_remainder_z
      - .offset:         56
        .size:           8
        .value_kind:     hidden_global_offset_x
      - .offset:         64
        .size:           8
        .value_kind:     hidden_global_offset_y
      - .offset:         72
        .size:           8
        .value_kind:     hidden_global_offset_z
      - .offset:         80
        .size:           2
        .value_kind:     hidden_grid_dims
    .group_segment_fixed_size: 0
    .kernarg_segment_align: 8
    .kernarg_segment_size: 272
    .language:       OpenCL C
    .language_version:
      - 2
      - 0
    .max_flat_workgroup_size: 1024
    .name:           _Z18thread_load_kernelIfEvPT_S1_
    .private_segment_fixed_size: 16
    .sgpr_count:     16
    .sgpr_spill_count: 0
    .symbol:         _Z18thread_load_kernelIfEvPT_S1_.kd
    .uniform_work_group_size: 1
    .uses_dynamic_stack: false
    .vgpr_count:     8
    .vgpr_spill_count: 0
    .wavefront_size: 32
    .workgroup_processor_mode: 1
  - .args:
      - .address_space:  global
        .offset:         0
        .size:           8
        .value_kind:     global_buffer
      - .address_space:  global
        .offset:         8
        .size:           8
        .value_kind:     global_buffer
      - .offset:         16
        .size:           4
        .value_kind:     hidden_block_count_x
      - .offset:         20
        .size:           4
        .value_kind:     hidden_block_count_y
      - .offset:         24
        .size:           4
        .value_kind:     hidden_block_count_z
      - .offset:         28
        .size:           2
        .value_kind:     hidden_group_size_x
      - .offset:         30
        .size:           2
        .value_kind:     hidden_group_size_y
      - .offset:         32
        .size:           2
        .value_kind:     hidden_group_size_z
      - .offset:         34
        .size:           2
        .value_kind:     hidden_remainder_x
      - .offset:         36
        .size:           2
        .value_kind:     hidden_remainder_y
      - .offset:         38
        .size:           2
        .value_kind:     hidden_remainder_z
      - .offset:         56
        .size:           8
        .value_kind:     hidden_global_offset_x
      - .offset:         64
        .size:           8
        .value_kind:     hidden_global_offset_y
      - .offset:         72
        .size:           8
        .value_kind:     hidden_global_offset_z
      - .offset:         80
        .size:           2
        .value_kind:     hidden_grid_dims
    .group_segment_fixed_size: 0
    .kernarg_segment_align: 8
    .kernarg_segment_size: 272
    .language:       OpenCL C
    .language_version:
      - 2
      - 0
    .max_flat_workgroup_size: 1024
    .name:           _Z18thread_load_kernelI12hip_bfloat16EvPT_S2_
    .private_segment_fixed_size: 16
    .sgpr_count:     18
    .sgpr_spill_count: 0
    .symbol:         _Z18thread_load_kernelI12hip_bfloat16EvPT_S2_.kd
    .uniform_work_group_size: 1
    .uses_dynamic_stack: false
    .vgpr_count:     8
    .vgpr_spill_count: 0
    .wavefront_size: 32
    .workgroup_processor_mode: 1
  - .args:
      - .address_space:  global
        .offset:         0
        .size:           8
        .value_kind:     global_buffer
      - .address_space:  global
        .offset:         8
        .size:           8
        .value_kind:     global_buffer
      - .offset:         16
        .size:           4
        .value_kind:     hidden_block_count_x
      - .offset:         20
        .size:           4
        .value_kind:     hidden_block_count_y
      - .offset:         24
        .size:           4
        .value_kind:     hidden_block_count_z
      - .offset:         28
        .size:           2
        .value_kind:     hidden_group_size_x
      - .offset:         30
        .size:           2
        .value_kind:     hidden_group_size_y
      - .offset:         32
        .size:           2
        .value_kind:     hidden_group_size_z
      - .offset:         34
        .size:           2
        .value_kind:     hidden_remainder_x
      - .offset:         36
        .size:           2
        .value_kind:     hidden_remainder_y
      - .offset:         38
        .size:           2
        .value_kind:     hidden_remainder_z
      - .offset:         56
        .size:           8
        .value_kind:     hidden_global_offset_x
      - .offset:         64
        .size:           8
        .value_kind:     hidden_global_offset_y
      - .offset:         72
        .size:           8
        .value_kind:     hidden_global_offset_z
      - .offset:         80
        .size:           2
        .value_kind:     hidden_grid_dims
    .group_segment_fixed_size: 0
    .kernarg_segment_align: 8
    .kernarg_segment_size: 272
    .language:       OpenCL C
    .language_version:
      - 2
      - 0
    .max_flat_workgroup_size: 1024
    .name:           _Z18thread_load_kernelI6__halfEvPT_S2_
    .private_segment_fixed_size: 16
    .sgpr_count:     18
    .sgpr_spill_count: 0
    .symbol:         _Z18thread_load_kernelI6__halfEvPT_S2_.kd
    .uniform_work_group_size: 1
    .uses_dynamic_stack: false
    .vgpr_count:     8
    .vgpr_spill_count: 0
    .wavefront_size: 32
    .workgroup_processor_mode: 1
  - .args:
      - .address_space:  global
        .offset:         0
        .size:           8
        .value_kind:     global_buffer
      - .address_space:  global
        .offset:         8
        .size:           8
        .value_kind:     global_buffer
      - .offset:         16
        .size:           4
        .value_kind:     hidden_block_count_x
      - .offset:         20
        .size:           4
        .value_kind:     hidden_block_count_y
      - .offset:         24
        .size:           4
        .value_kind:     hidden_block_count_z
      - .offset:         28
        .size:           2
        .value_kind:     hidden_group_size_x
      - .offset:         30
        .size:           2
        .value_kind:     hidden_group_size_y
      - .offset:         32
        .size:           2
        .value_kind:     hidden_group_size_z
      - .offset:         34
        .size:           2
        .value_kind:     hidden_remainder_x
      - .offset:         36
        .size:           2
        .value_kind:     hidden_remainder_y
      - .offset:         38
        .size:           2
        .value_kind:     hidden_remainder_z
      - .offset:         56
        .size:           8
        .value_kind:     hidden_global_offset_x
      - .offset:         64
        .size:           8
        .value_kind:     hidden_global_offset_y
      - .offset:         72
        .size:           8
        .value_kind:     hidden_global_offset_z
      - .offset:         80
        .size:           2
        .value_kind:     hidden_grid_dims
    .group_segment_fixed_size: 0
    .kernarg_segment_align: 8
    .kernarg_segment_size: 272
    .language:       OpenCL C
    .language_version:
      - 2
      - 0
    .max_flat_workgroup_size: 1024
    .name:           _Z18thread_load_kernelIiEvPT_S1_
    .private_segment_fixed_size: 16
    .sgpr_count:     18
    .sgpr_spill_count: 0
    .symbol:         _Z18thread_load_kernelIiEvPT_S1_.kd
    .uniform_work_group_size: 1
    .uses_dynamic_stack: false
    .vgpr_count:     8
    .vgpr_spill_count: 0
    .wavefront_size: 32
    .workgroup_processor_mode: 1
  - .args:
      - .address_space:  global
        .offset:         0
        .size:           8
        .value_kind:     global_buffer
      - .address_space:  global
        .offset:         8
        .size:           8
        .value_kind:     global_buffer
      - .offset:         16
        .size:           4
        .value_kind:     hidden_block_count_x
      - .offset:         20
        .size:           4
        .value_kind:     hidden_block_count_y
      - .offset:         24
        .size:           4
        .value_kind:     hidden_block_count_z
      - .offset:         28
        .size:           2
        .value_kind:     hidden_group_size_x
      - .offset:         30
        .size:           2
        .value_kind:     hidden_group_size_y
      - .offset:         32
        .size:           2
        .value_kind:     hidden_group_size_z
      - .offset:         34
        .size:           2
        .value_kind:     hidden_remainder_x
      - .offset:         36
        .size:           2
        .value_kind:     hidden_remainder_y
      - .offset:         38
        .size:           2
        .value_kind:     hidden_remainder_z
      - .offset:         56
        .size:           8
        .value_kind:     hidden_global_offset_x
      - .offset:         64
        .size:           8
        .value_kind:     hidden_global_offset_y
      - .offset:         72
        .size:           8
        .value_kind:     hidden_global_offset_z
      - .offset:         80
        .size:           2
        .value_kind:     hidden_grid_dims
    .group_segment_fixed_size: 0
    .kernarg_segment_align: 8
    .kernarg_segment_size: 272
    .language:       OpenCL C
    .language_version:
      - 2
      - 0
    .max_flat_workgroup_size: 1024
    .name:           _Z18thread_load_kernelImEvPT_S1_
    .private_segment_fixed_size: 16
    .sgpr_count:     18
    .sgpr_spill_count: 0
    .symbol:         _Z18thread_load_kernelImEvPT_S1_.kd
    .uniform_work_group_size: 1
    .uses_dynamic_stack: false
    .vgpr_count:     8
    .vgpr_spill_count: 0
    .wavefront_size: 32
    .workgroup_processor_mode: 1
  - .args:
      - .address_space:  global
        .offset:         0
        .size:           8
        .value_kind:     global_buffer
      - .address_space:  global
        .offset:         8
        .size:           8
        .value_kind:     global_buffer
      - .offset:         16
        .size:           4
        .value_kind:     hidden_block_count_x
      - .offset:         20
        .size:           4
        .value_kind:     hidden_block_count_y
      - .offset:         24
        .size:           4
        .value_kind:     hidden_block_count_z
      - .offset:         28
        .size:           2
        .value_kind:     hidden_group_size_x
      - .offset:         30
        .size:           2
        .value_kind:     hidden_group_size_y
      - .offset:         32
        .size:           2
        .value_kind:     hidden_group_size_z
      - .offset:         34
        .size:           2
        .value_kind:     hidden_remainder_x
      - .offset:         36
        .size:           2
        .value_kind:     hidden_remainder_y
      - .offset:         38
        .size:           2
        .value_kind:     hidden_remainder_z
      - .offset:         56
        .size:           8
        .value_kind:     hidden_global_offset_x
      - .offset:         64
        .size:           8
        .value_kind:     hidden_global_offset_y
      - .offset:         72
        .size:           8
        .value_kind:     hidden_global_offset_z
      - .offset:         80
        .size:           2
        .value_kind:     hidden_grid_dims
    .group_segment_fixed_size: 0
    .kernarg_segment_align: 8
    .kernarg_segment_size: 272
    .language:       OpenCL C
    .language_version:
      - 2
      - 0
    .max_flat_workgroup_size: 1024
    .name:           _Z18thread_load_kernelIjEvPT_S1_
    .private_segment_fixed_size: 16
    .sgpr_count:     18
    .sgpr_spill_count: 0
    .symbol:         _Z18thread_load_kernelIjEvPT_S1_.kd
    .uniform_work_group_size: 1
    .uses_dynamic_stack: false
    .vgpr_count:     8
    .vgpr_spill_count: 0
    .wavefront_size: 32
    .workgroup_processor_mode: 1
  - .args:
      - .address_space:  global
        .offset:         0
        .size:           8
        .value_kind:     global_buffer
      - .address_space:  global
        .offset:         8
        .size:           8
        .value_kind:     global_buffer
      - .offset:         16
        .size:           4
        .value_kind:     hidden_block_count_x
      - .offset:         20
        .size:           4
        .value_kind:     hidden_block_count_y
      - .offset:         24
        .size:           4
        .value_kind:     hidden_block_count_z
      - .offset:         28
        .size:           2
        .value_kind:     hidden_group_size_x
      - .offset:         30
        .size:           2
        .value_kind:     hidden_group_size_y
      - .offset:         32
        .size:           2
        .value_kind:     hidden_group_size_z
      - .offset:         34
        .size:           2
        .value_kind:     hidden_remainder_x
      - .offset:         36
        .size:           2
        .value_kind:     hidden_remainder_y
      - .offset:         38
        .size:           2
        .value_kind:     hidden_remainder_z
      - .offset:         56
        .size:           8
        .value_kind:     hidden_global_offset_x
      - .offset:         64
        .size:           8
        .value_kind:     hidden_global_offset_y
      - .offset:         72
        .size:           8
        .value_kind:     hidden_global_offset_z
      - .offset:         80
        .size:           2
        .value_kind:     hidden_grid_dims
    .group_segment_fixed_size: 0
    .kernarg_segment_align: 8
    .kernarg_segment_size: 272
    .language:       OpenCL C
    .language_version:
      - 2
      - 0
    .max_flat_workgroup_size: 1024
    .name:           _Z18thread_load_kernelItEvPT_S1_
    .private_segment_fixed_size: 16
    .sgpr_count:     18
    .sgpr_spill_count: 0
    .symbol:         _Z18thread_load_kernelItEvPT_S1_.kd
    .uniform_work_group_size: 1
    .uses_dynamic_stack: false
    .vgpr_count:     8
    .vgpr_spill_count: 0
    .wavefront_size: 32
    .workgroup_processor_mode: 1
  - .args:
      - .address_space:  global
        .offset:         0
        .size:           8
        .value_kind:     global_buffer
      - .address_space:  global
        .offset:         8
        .size:           8
        .value_kind:     global_buffer
      - .offset:         16
        .size:           4
        .value_kind:     hidden_block_count_x
      - .offset:         20
        .size:           4
        .value_kind:     hidden_block_count_y
      - .offset:         24
        .size:           4
        .value_kind:     hidden_block_count_z
      - .offset:         28
        .size:           2
        .value_kind:     hidden_group_size_x
      - .offset:         30
        .size:           2
        .value_kind:     hidden_group_size_y
      - .offset:         32
        .size:           2
        .value_kind:     hidden_group_size_z
      - .offset:         34
        .size:           2
        .value_kind:     hidden_remainder_x
      - .offset:         36
        .size:           2
        .value_kind:     hidden_remainder_y
      - .offset:         38
        .size:           2
        .value_kind:     hidden_remainder_z
      - .offset:         56
        .size:           8
        .value_kind:     hidden_global_offset_x
      - .offset:         64
        .size:           8
        .value_kind:     hidden_global_offset_y
      - .offset:         72
        .size:           8
        .value_kind:     hidden_global_offset_z
      - .offset:         80
        .size:           2
        .value_kind:     hidden_grid_dims
    .group_segment_fixed_size: 0
    .kernarg_segment_align: 8
    .kernarg_segment_size: 272
    .language:       OpenCL C
    .language_version:
      - 2
      - 0
    .max_flat_workgroup_size: 1024
    .name:           _Z18thread_load_kernelIhEvPT_S1_
    .private_segment_fixed_size: 16
    .sgpr_count:     16
    .sgpr_spill_count: 0
    .symbol:         _Z18thread_load_kernelIhEvPT_S1_.kd
    .uniform_work_group_size: 1
    .uses_dynamic_stack: false
    .vgpr_count:     8
    .vgpr_spill_count: 0
    .wavefront_size: 32
    .workgroup_processor_mode: 1
  - .args:
      - .address_space:  global
        .offset:         0
        .size:           8
        .value_kind:     global_buffer
      - .address_space:  global
        .offset:         8
        .size:           8
        .value_kind:     global_buffer
      - .offset:         16
        .size:           4
        .value_kind:     hidden_block_count_x
      - .offset:         20
        .size:           4
        .value_kind:     hidden_block_count_y
      - .offset:         24
        .size:           4
        .value_kind:     hidden_block_count_z
      - .offset:         28
        .size:           2
        .value_kind:     hidden_group_size_x
      - .offset:         30
        .size:           2
        .value_kind:     hidden_group_size_y
      - .offset:         32
        .size:           2
        .value_kind:     hidden_group_size_z
      - .offset:         34
        .size:           2
        .value_kind:     hidden_remainder_x
      - .offset:         36
        .size:           2
        .value_kind:     hidden_remainder_y
      - .offset:         38
        .size:           2
        .value_kind:     hidden_remainder_z
      - .offset:         56
        .size:           8
        .value_kind:     hidden_global_offset_x
      - .offset:         64
        .size:           8
        .value_kind:     hidden_global_offset_y
      - .offset:         72
        .size:           8
        .value_kind:     hidden_global_offset_z
      - .offset:         80
        .size:           2
        .value_kind:     hidden_grid_dims
    .group_segment_fixed_size: 0
    .kernarg_segment_align: 8
    .kernarg_segment_size: 272
    .language:       OpenCL C
    .language_version:
      - 2
      - 0
    .max_flat_workgroup_size: 1024
    .name:           _Z25thread_copy_unroll_kernelILj4EoEvPT0_S1_
    .private_segment_fixed_size: 0
    .sgpr_count:     18
    .sgpr_spill_count: 0
    .symbol:         _Z25thread_copy_unroll_kernelILj4EoEvPT0_S1_.kd
    .uniform_work_group_size: 1
    .uses_dynamic_stack: false
    .vgpr_count:     8
    .vgpr_spill_count: 0
    .wavefront_size: 32
    .workgroup_processor_mode: 1
  - .args:
      - .address_space:  global
        .offset:         0
        .size:           8
        .value_kind:     global_buffer
      - .address_space:  global
        .offset:         8
        .size:           8
        .value_kind:     global_buffer
      - .offset:         16
        .size:           4
        .value_kind:     hidden_block_count_x
      - .offset:         20
        .size:           4
        .value_kind:     hidden_block_count_y
      - .offset:         24
        .size:           4
        .value_kind:     hidden_block_count_z
      - .offset:         28
        .size:           2
        .value_kind:     hidden_group_size_x
      - .offset:         30
        .size:           2
        .value_kind:     hidden_group_size_y
      - .offset:         32
        .size:           2
        .value_kind:     hidden_group_size_z
      - .offset:         34
        .size:           2
        .value_kind:     hidden_remainder_x
      - .offset:         36
        .size:           2
        .value_kind:     hidden_remainder_y
      - .offset:         38
        .size:           2
        .value_kind:     hidden_remainder_z
      - .offset:         56
        .size:           8
        .value_kind:     hidden_global_offset_x
      - .offset:         64
        .size:           8
        .value_kind:     hidden_global_offset_y
      - .offset:         72
        .size:           8
        .value_kind:     hidden_global_offset_z
      - .offset:         80
        .size:           2
        .value_kind:     hidden_grid_dims
    .group_segment_fixed_size: 0
    .kernarg_segment_align: 8
    .kernarg_segment_size: 272
    .language:       OpenCL C
    .language_version:
      - 2
      - 0
    .max_flat_workgroup_size: 1024
    .name:           _Z25thread_copy_unroll_kernelILj4EN6common11custom_typeIddLb1EEEEvPT0_S4_
    .private_segment_fixed_size: 0
    .sgpr_count:     18
    .sgpr_spill_count: 0
    .symbol:         _Z25thread_copy_unroll_kernelILj4EN6common11custom_typeIddLb1EEEEvPT0_S4_.kd
    .uniform_work_group_size: 1
    .uses_dynamic_stack: false
    .vgpr_count:     14
    .vgpr_spill_count: 0
    .wavefront_size: 32
    .workgroup_processor_mode: 1
  - .args:
      - .address_space:  global
        .offset:         0
        .size:           8
        .value_kind:     global_buffer
      - .address_space:  global
        .offset:         8
        .size:           8
        .value_kind:     global_buffer
      - .offset:         16
        .size:           4
        .value_kind:     hidden_block_count_x
      - .offset:         20
        .size:           4
        .value_kind:     hidden_block_count_y
      - .offset:         24
        .size:           4
        .value_kind:     hidden_block_count_z
      - .offset:         28
        .size:           2
        .value_kind:     hidden_group_size_x
      - .offset:         30
        .size:           2
        .value_kind:     hidden_group_size_y
      - .offset:         32
        .size:           2
        .value_kind:     hidden_group_size_z
      - .offset:         34
        .size:           2
        .value_kind:     hidden_remainder_x
      - .offset:         36
        .size:           2
        .value_kind:     hidden_remainder_y
      - .offset:         38
        .size:           2
        .value_kind:     hidden_remainder_z
      - .offset:         56
        .size:           8
        .value_kind:     hidden_global_offset_x
      - .offset:         64
        .size:           8
        .value_kind:     hidden_global_offset_y
      - .offset:         72
        .size:           8
        .value_kind:     hidden_global_offset_z
      - .offset:         80
        .size:           2
        .value_kind:     hidden_grid_dims
    .group_segment_fixed_size: 0
    .kernarg_segment_align: 8
    .kernarg_segment_size: 272
    .language:       OpenCL C
    .language_version:
      - 2
      - 0
    .max_flat_workgroup_size: 1024
    .name:           _Z25thread_copy_unroll_kernelILj4EN6common11custom_typeImmLb1EEEEvPT0_S4_
    .private_segment_fixed_size: 0
    .sgpr_count:     18
    .sgpr_spill_count: 0
    .symbol:         _Z25thread_copy_unroll_kernelILj4EN6common11custom_typeImmLb1EEEEvPT0_S4_.kd
    .uniform_work_group_size: 1
    .uses_dynamic_stack: false
    .vgpr_count:     10
    .vgpr_spill_count: 0
    .wavefront_size: 32
    .workgroup_processor_mode: 1
  - .args:
      - .address_space:  global
        .offset:         0
        .size:           8
        .value_kind:     global_buffer
      - .address_space:  global
        .offset:         8
        .size:           8
        .value_kind:     global_buffer
      - .offset:         16
        .size:           4
        .value_kind:     hidden_block_count_x
      - .offset:         20
        .size:           4
        .value_kind:     hidden_block_count_y
      - .offset:         24
        .size:           4
        .value_kind:     hidden_block_count_z
      - .offset:         28
        .size:           2
        .value_kind:     hidden_group_size_x
      - .offset:         30
        .size:           2
        .value_kind:     hidden_group_size_y
      - .offset:         32
        .size:           2
        .value_kind:     hidden_group_size_z
      - .offset:         34
        .size:           2
        .value_kind:     hidden_remainder_x
      - .offset:         36
        .size:           2
        .value_kind:     hidden_remainder_y
      - .offset:         38
        .size:           2
        .value_kind:     hidden_remainder_z
      - .offset:         56
        .size:           8
        .value_kind:     hidden_global_offset_x
      - .offset:         64
        .size:           8
        .value_kind:     hidden_global_offset_y
      - .offset:         72
        .size:           8
        .value_kind:     hidden_global_offset_z
      - .offset:         80
        .size:           2
        .value_kind:     hidden_grid_dims
    .group_segment_fixed_size: 0
    .kernarg_segment_align: 8
    .kernarg_segment_size: 272
    .language:       OpenCL C
    .language_version:
      - 2
      - 0
    .max_flat_workgroup_size: 1024
    .name:           _Z25thread_copy_unroll_kernelILj4EdEvPT0_S1_
    .private_segment_fixed_size: 0
    .sgpr_count:     18
    .sgpr_spill_count: 0
    .symbol:         _Z25thread_copy_unroll_kernelILj4EdEvPT0_S1_.kd
    .uniform_work_group_size: 1
    .uses_dynamic_stack: false
    .vgpr_count:     6
    .vgpr_spill_count: 0
    .wavefront_size: 32
    .workgroup_processor_mode: 1
  - .args:
      - .address_space:  global
        .offset:         0
        .size:           8
        .value_kind:     global_buffer
      - .address_space:  global
        .offset:         8
        .size:           8
        .value_kind:     global_buffer
      - .offset:         16
        .size:           4
        .value_kind:     hidden_block_count_x
      - .offset:         20
        .size:           4
        .value_kind:     hidden_block_count_y
      - .offset:         24
        .size:           4
        .value_kind:     hidden_block_count_z
      - .offset:         28
        .size:           2
        .value_kind:     hidden_group_size_x
      - .offset:         30
        .size:           2
        .value_kind:     hidden_group_size_y
      - .offset:         32
        .size:           2
        .value_kind:     hidden_group_size_z
      - .offset:         34
        .size:           2
        .value_kind:     hidden_remainder_x
      - .offset:         36
        .size:           2
        .value_kind:     hidden_remainder_y
      - .offset:         38
        .size:           2
        .value_kind:     hidden_remainder_z
      - .offset:         56
        .size:           8
        .value_kind:     hidden_global_offset_x
      - .offset:         64
        .size:           8
        .value_kind:     hidden_global_offset_y
      - .offset:         72
        .size:           8
        .value_kind:     hidden_global_offset_z
      - .offset:         80
        .size:           2
        .value_kind:     hidden_grid_dims
    .group_segment_fixed_size: 0
    .kernarg_segment_align: 8
    .kernarg_segment_size: 272
    .language:       OpenCL C
    .language_version:
      - 2
      - 0
    .max_flat_workgroup_size: 1024
    .name:           _Z25thread_copy_unroll_kernelILj4EfEvPT0_S1_
    .private_segment_fixed_size: 0
    .sgpr_count:     18
    .sgpr_spill_count: 0
    .symbol:         _Z25thread_copy_unroll_kernelILj4EfEvPT0_S1_.kd
    .uniform_work_group_size: 1
    .uses_dynamic_stack: false
    .vgpr_count:     5
    .vgpr_spill_count: 0
    .wavefront_size: 32
    .workgroup_processor_mode: 1
  - .args:
      - .address_space:  global
        .offset:         0
        .size:           8
        .value_kind:     global_buffer
      - .address_space:  global
        .offset:         8
        .size:           8
        .value_kind:     global_buffer
      - .offset:         16
        .size:           4
        .value_kind:     hidden_block_count_x
      - .offset:         20
        .size:           4
        .value_kind:     hidden_block_count_y
      - .offset:         24
        .size:           4
        .value_kind:     hidden_block_count_z
      - .offset:         28
        .size:           2
        .value_kind:     hidden_group_size_x
      - .offset:         30
        .size:           2
        .value_kind:     hidden_group_size_y
      - .offset:         32
        .size:           2
        .value_kind:     hidden_group_size_z
      - .offset:         34
        .size:           2
        .value_kind:     hidden_remainder_x
      - .offset:         36
        .size:           2
        .value_kind:     hidden_remainder_y
      - .offset:         38
        .size:           2
        .value_kind:     hidden_remainder_z
      - .offset:         56
        .size:           8
        .value_kind:     hidden_global_offset_x
      - .offset:         64
        .size:           8
        .value_kind:     hidden_global_offset_y
      - .offset:         72
        .size:           8
        .value_kind:     hidden_global_offset_z
      - .offset:         80
        .size:           2
        .value_kind:     hidden_grid_dims
    .group_segment_fixed_size: 0
    .kernarg_segment_align: 8
    .kernarg_segment_size: 272
    .language:       OpenCL C
    .language_version:
      - 2
      - 0
    .max_flat_workgroup_size: 1024
    .name:           _Z25thread_copy_unroll_kernelILj4E12hip_bfloat16EvPT0_S2_
    .private_segment_fixed_size: 0
    .sgpr_count:     18
    .sgpr_spill_count: 0
    .symbol:         _Z25thread_copy_unroll_kernelILj4E12hip_bfloat16EvPT0_S2_.kd
    .uniform_work_group_size: 1
    .uses_dynamic_stack: false
    .vgpr_count:     7
    .vgpr_spill_count: 0
    .wavefront_size: 32
    .workgroup_processor_mode: 1
  - .args:
      - .address_space:  global
        .offset:         0
        .size:           8
        .value_kind:     global_buffer
      - .address_space:  global
        .offset:         8
        .size:           8
        .value_kind:     global_buffer
      - .offset:         16
        .size:           4
        .value_kind:     hidden_block_count_x
      - .offset:         20
        .size:           4
        .value_kind:     hidden_block_count_y
      - .offset:         24
        .size:           4
        .value_kind:     hidden_block_count_z
      - .offset:         28
        .size:           2
        .value_kind:     hidden_group_size_x
      - .offset:         30
        .size:           2
        .value_kind:     hidden_group_size_y
      - .offset:         32
        .size:           2
        .value_kind:     hidden_group_size_z
      - .offset:         34
        .size:           2
        .value_kind:     hidden_remainder_x
      - .offset:         36
        .size:           2
        .value_kind:     hidden_remainder_y
      - .offset:         38
        .size:           2
        .value_kind:     hidden_remainder_z
      - .offset:         56
        .size:           8
        .value_kind:     hidden_global_offset_x
      - .offset:         64
        .size:           8
        .value_kind:     hidden_global_offset_y
      - .offset:         72
        .size:           8
        .value_kind:     hidden_global_offset_z
      - .offset:         80
        .size:           2
        .value_kind:     hidden_grid_dims
    .group_segment_fixed_size: 0
    .kernarg_segment_align: 8
    .kernarg_segment_size: 272
    .language:       OpenCL C
    .language_version:
      - 2
      - 0
    .max_flat_workgroup_size: 1024
    .name:           _Z25thread_copy_unroll_kernelILj4E6__halfEvPT0_S2_
    .private_segment_fixed_size: 0
    .sgpr_count:     18
    .sgpr_spill_count: 0
    .symbol:         _Z25thread_copy_unroll_kernelILj4E6__halfEvPT0_S2_.kd
    .uniform_work_group_size: 1
    .uses_dynamic_stack: false
    .vgpr_count:     7
    .vgpr_spill_count: 0
    .wavefront_size: 32
    .workgroup_processor_mode: 1
  - .args:
      - .address_space:  global
        .offset:         0
        .size:           8
        .value_kind:     global_buffer
      - .address_space:  global
        .offset:         8
        .size:           8
        .value_kind:     global_buffer
      - .offset:         16
        .size:           4
        .value_kind:     hidden_block_count_x
      - .offset:         20
        .size:           4
        .value_kind:     hidden_block_count_y
      - .offset:         24
        .size:           4
        .value_kind:     hidden_block_count_z
      - .offset:         28
        .size:           2
        .value_kind:     hidden_group_size_x
      - .offset:         30
        .size:           2
        .value_kind:     hidden_group_size_y
      - .offset:         32
        .size:           2
        .value_kind:     hidden_group_size_z
      - .offset:         34
        .size:           2
        .value_kind:     hidden_remainder_x
      - .offset:         36
        .size:           2
        .value_kind:     hidden_remainder_y
      - .offset:         38
        .size:           2
        .value_kind:     hidden_remainder_z
      - .offset:         56
        .size:           8
        .value_kind:     hidden_global_offset_x
      - .offset:         64
        .size:           8
        .value_kind:     hidden_global_offset_y
      - .offset:         72
        .size:           8
        .value_kind:     hidden_global_offset_z
      - .offset:         80
        .size:           2
        .value_kind:     hidden_grid_dims
    .group_segment_fixed_size: 0
    .kernarg_segment_align: 8
    .kernarg_segment_size: 272
    .language:       OpenCL C
    .language_version:
      - 2
      - 0
    .max_flat_workgroup_size: 1024
    .name:           _Z25thread_copy_unroll_kernelILj4EiEvPT0_S1_
    .private_segment_fixed_size: 0
    .sgpr_count:     18
    .sgpr_spill_count: 0
    .symbol:         _Z25thread_copy_unroll_kernelILj4EiEvPT0_S1_.kd
    .uniform_work_group_size: 1
    .uses_dynamic_stack: false
    .vgpr_count:     5
    .vgpr_spill_count: 0
    .wavefront_size: 32
    .workgroup_processor_mode: 1
  - .args:
      - .address_space:  global
        .offset:         0
        .size:           8
        .value_kind:     global_buffer
      - .address_space:  global
        .offset:         8
        .size:           8
        .value_kind:     global_buffer
      - .offset:         16
        .size:           4
        .value_kind:     hidden_block_count_x
      - .offset:         20
        .size:           4
        .value_kind:     hidden_block_count_y
      - .offset:         24
        .size:           4
        .value_kind:     hidden_block_count_z
      - .offset:         28
        .size:           2
        .value_kind:     hidden_group_size_x
      - .offset:         30
        .size:           2
        .value_kind:     hidden_group_size_y
      - .offset:         32
        .size:           2
        .value_kind:     hidden_group_size_z
      - .offset:         34
        .size:           2
        .value_kind:     hidden_remainder_x
      - .offset:         36
        .size:           2
        .value_kind:     hidden_remainder_y
      - .offset:         38
        .size:           2
        .value_kind:     hidden_remainder_z
      - .offset:         56
        .size:           8
        .value_kind:     hidden_global_offset_x
      - .offset:         64
        .size:           8
        .value_kind:     hidden_global_offset_y
      - .offset:         72
        .size:           8
        .value_kind:     hidden_global_offset_z
      - .offset:         80
        .size:           2
        .value_kind:     hidden_grid_dims
    .group_segment_fixed_size: 0
    .kernarg_segment_align: 8
    .kernarg_segment_size: 272
    .language:       OpenCL C
    .language_version:
      - 2
      - 0
    .max_flat_workgroup_size: 1024
    .name:           _Z25thread_copy_unroll_kernelILj4EmEvPT0_S1_
    .private_segment_fixed_size: 0
    .sgpr_count:     18
    .sgpr_spill_count: 0
    .symbol:         _Z25thread_copy_unroll_kernelILj4EmEvPT0_S1_.kd
    .uniform_work_group_size: 1
    .uses_dynamic_stack: false
    .vgpr_count:     6
    .vgpr_spill_count: 0
    .wavefront_size: 32
    .workgroup_processor_mode: 1
  - .args:
      - .address_space:  global
        .offset:         0
        .size:           8
        .value_kind:     global_buffer
      - .address_space:  global
        .offset:         8
        .size:           8
        .value_kind:     global_buffer
      - .offset:         16
        .size:           4
        .value_kind:     hidden_block_count_x
      - .offset:         20
        .size:           4
        .value_kind:     hidden_block_count_y
      - .offset:         24
        .size:           4
        .value_kind:     hidden_block_count_z
      - .offset:         28
        .size:           2
        .value_kind:     hidden_group_size_x
      - .offset:         30
        .size:           2
        .value_kind:     hidden_group_size_y
      - .offset:         32
        .size:           2
        .value_kind:     hidden_group_size_z
      - .offset:         34
        .size:           2
        .value_kind:     hidden_remainder_x
      - .offset:         36
        .size:           2
        .value_kind:     hidden_remainder_y
      - .offset:         38
        .size:           2
        .value_kind:     hidden_remainder_z
      - .offset:         56
        .size:           8
        .value_kind:     hidden_global_offset_x
      - .offset:         64
        .size:           8
        .value_kind:     hidden_global_offset_y
      - .offset:         72
        .size:           8
        .value_kind:     hidden_global_offset_z
      - .offset:         80
        .size:           2
        .value_kind:     hidden_grid_dims
    .group_segment_fixed_size: 0
    .kernarg_segment_align: 8
    .kernarg_segment_size: 272
    .language:       OpenCL C
    .language_version:
      - 2
      - 0
    .max_flat_workgroup_size: 1024
    .name:           _Z25thread_copy_unroll_kernelILj4EjEvPT0_S1_
    .private_segment_fixed_size: 0
    .sgpr_count:     18
    .sgpr_spill_count: 0
    .symbol:         _Z25thread_copy_unroll_kernelILj4EjEvPT0_S1_.kd
    .uniform_work_group_size: 1
    .uses_dynamic_stack: false
    .vgpr_count:     5
    .vgpr_spill_count: 0
    .wavefront_size: 32
    .workgroup_processor_mode: 1
  - .args:
      - .address_space:  global
        .offset:         0
        .size:           8
        .value_kind:     global_buffer
      - .address_space:  global
        .offset:         8
        .size:           8
        .value_kind:     global_buffer
      - .offset:         16
        .size:           4
        .value_kind:     hidden_block_count_x
      - .offset:         20
        .size:           4
        .value_kind:     hidden_block_count_y
      - .offset:         24
        .size:           4
        .value_kind:     hidden_block_count_z
      - .offset:         28
        .size:           2
        .value_kind:     hidden_group_size_x
      - .offset:         30
        .size:           2
        .value_kind:     hidden_group_size_y
      - .offset:         32
        .size:           2
        .value_kind:     hidden_group_size_z
      - .offset:         34
        .size:           2
        .value_kind:     hidden_remainder_x
      - .offset:         36
        .size:           2
        .value_kind:     hidden_remainder_y
      - .offset:         38
        .size:           2
        .value_kind:     hidden_remainder_z
      - .offset:         56
        .size:           8
        .value_kind:     hidden_global_offset_x
      - .offset:         64
        .size:           8
        .value_kind:     hidden_global_offset_y
      - .offset:         72
        .size:           8
        .value_kind:     hidden_global_offset_z
      - .offset:         80
        .size:           2
        .value_kind:     hidden_grid_dims
    .group_segment_fixed_size: 0
    .kernarg_segment_align: 8
    .kernarg_segment_size: 272
    .language:       OpenCL C
    .language_version:
      - 2
      - 0
    .max_flat_workgroup_size: 1024
    .name:           _Z25thread_copy_unroll_kernelILj4EtEvPT0_S1_
    .private_segment_fixed_size: 0
    .sgpr_count:     18
    .sgpr_spill_count: 0
    .symbol:         _Z25thread_copy_unroll_kernelILj4EtEvPT0_S1_.kd
    .uniform_work_group_size: 1
    .uses_dynamic_stack: false
    .vgpr_count:     5
    .vgpr_spill_count: 0
    .wavefront_size: 32
    .workgroup_processor_mode: 1
  - .args:
      - .address_space:  global
        .offset:         0
        .size:           8
        .value_kind:     global_buffer
      - .address_space:  global
        .offset:         8
        .size:           8
        .value_kind:     global_buffer
      - .offset:         16
        .size:           4
        .value_kind:     hidden_block_count_x
      - .offset:         20
        .size:           4
        .value_kind:     hidden_block_count_y
      - .offset:         24
        .size:           4
        .value_kind:     hidden_block_count_z
      - .offset:         28
        .size:           2
        .value_kind:     hidden_group_size_x
      - .offset:         30
        .size:           2
        .value_kind:     hidden_group_size_y
      - .offset:         32
        .size:           2
        .value_kind:     hidden_group_size_z
      - .offset:         34
        .size:           2
        .value_kind:     hidden_remainder_x
      - .offset:         36
        .size:           2
        .value_kind:     hidden_remainder_y
      - .offset:         38
        .size:           2
        .value_kind:     hidden_remainder_z
      - .offset:         56
        .size:           8
        .value_kind:     hidden_global_offset_x
      - .offset:         64
        .size:           8
        .value_kind:     hidden_global_offset_y
      - .offset:         72
        .size:           8
        .value_kind:     hidden_global_offset_z
      - .offset:         80
        .size:           2
        .value_kind:     hidden_grid_dims
    .group_segment_fixed_size: 0
    .kernarg_segment_align: 8
    .kernarg_segment_size: 272
    .language:       OpenCL C
    .language_version:
      - 2
      - 0
    .max_flat_workgroup_size: 1024
    .name:           _Z25thread_copy_unroll_kernelILj4EhEvPT0_S1_
    .private_segment_fixed_size: 0
    .sgpr_count:     18
    .sgpr_spill_count: 0
    .symbol:         _Z25thread_copy_unroll_kernelILj4EhEvPT0_S1_.kd
    .uniform_work_group_size: 1
    .uses_dynamic_stack: false
    .vgpr_count:     5
    .vgpr_spill_count: 0
    .wavefront_size: 32
    .workgroup_processor_mode: 1
  - .args:
      - .address_space:  global
        .offset:         0
        .size:           8
        .value_kind:     global_buffer
      - .address_space:  global
        .offset:         8
        .size:           8
        .value_kind:     global_buffer
      - .offset:         16
        .size:           4
        .value_kind:     hidden_block_count_x
      - .offset:         20
        .size:           4
        .value_kind:     hidden_block_count_y
      - .offset:         24
        .size:           4
        .value_kind:     hidden_block_count_z
      - .offset:         28
        .size:           2
        .value_kind:     hidden_group_size_x
      - .offset:         30
        .size:           2
        .value_kind:     hidden_group_size_y
      - .offset:         32
        .size:           2
        .value_kind:     hidden_group_size_z
      - .offset:         34
        .size:           2
        .value_kind:     hidden_remainder_x
      - .offset:         36
        .size:           2
        .value_kind:     hidden_remainder_y
      - .offset:         38
        .size:           2
        .value_kind:     hidden_remainder_z
      - .offset:         56
        .size:           8
        .value_kind:     hidden_global_offset_x
      - .offset:         64
        .size:           8
        .value_kind:     hidden_global_offset_y
      - .offset:         72
        .size:           8
        .value_kind:     hidden_global_offset_z
      - .offset:         80
        .size:           2
        .value_kind:     hidden_grid_dims
    .group_segment_fixed_size: 0
    .kernarg_segment_align: 8
    .kernarg_segment_size: 272
    .language:       OpenCL C
    .language_version:
      - 2
      - 0
    .max_flat_workgroup_size: 1024
    .name:           _Z19thread_store_kernelIoEvPT_S1_
    .private_segment_fixed_size: 0
    .sgpr_count:     18
    .sgpr_spill_count: 0
    .symbol:         _Z19thread_store_kernelIoEvPT_S1_.kd
    .uniform_work_group_size: 1
    .uses_dynamic_stack: false
    .vgpr_count:     6
    .vgpr_spill_count: 0
    .wavefront_size: 32
    .workgroup_processor_mode: 1
  - .args:
      - .address_space:  global
        .offset:         0
        .size:           8
        .value_kind:     global_buffer
      - .address_space:  global
        .offset:         8
        .size:           8
        .value_kind:     global_buffer
      - .offset:         16
        .size:           4
        .value_kind:     hidden_block_count_x
      - .offset:         20
        .size:           4
        .value_kind:     hidden_block_count_y
      - .offset:         24
        .size:           4
        .value_kind:     hidden_block_count_z
      - .offset:         28
        .size:           2
        .value_kind:     hidden_group_size_x
      - .offset:         30
        .size:           2
        .value_kind:     hidden_group_size_y
      - .offset:         32
        .size:           2
        .value_kind:     hidden_group_size_z
      - .offset:         34
        .size:           2
        .value_kind:     hidden_remainder_x
      - .offset:         36
        .size:           2
        .value_kind:     hidden_remainder_y
      - .offset:         38
        .size:           2
        .value_kind:     hidden_remainder_z
      - .offset:         56
        .size:           8
        .value_kind:     hidden_global_offset_x
      - .offset:         64
        .size:           8
        .value_kind:     hidden_global_offset_y
      - .offset:         72
        .size:           8
        .value_kind:     hidden_global_offset_z
      - .offset:         80
        .size:           2
        .value_kind:     hidden_grid_dims
    .group_segment_fixed_size: 0
    .kernarg_segment_align: 8
    .kernarg_segment_size: 272
    .language:       OpenCL C
    .language_version:
      - 2
      - 0
    .max_flat_workgroup_size: 1024
    .name:           _Z19thread_store_kernelIN6common11custom_typeIddLb1EEEEvPT_S4_
    .private_segment_fixed_size: 0
    .sgpr_count:     18
    .sgpr_spill_count: 0
    .symbol:         _Z19thread_store_kernelIN6common11custom_typeIddLb1EEEEvPT_S4_.kd
    .uniform_work_group_size: 1
    .uses_dynamic_stack: false
    .vgpr_count:     6
    .vgpr_spill_count: 0
    .wavefront_size: 32
    .workgroup_processor_mode: 1
  - .args:
      - .address_space:  global
        .offset:         0
        .size:           8
        .value_kind:     global_buffer
      - .address_space:  global
        .offset:         8
        .size:           8
        .value_kind:     global_buffer
      - .offset:         16
        .size:           4
        .value_kind:     hidden_block_count_x
      - .offset:         20
        .size:           4
        .value_kind:     hidden_block_count_y
      - .offset:         24
        .size:           4
        .value_kind:     hidden_block_count_z
      - .offset:         28
        .size:           2
        .value_kind:     hidden_group_size_x
      - .offset:         30
        .size:           2
        .value_kind:     hidden_group_size_y
      - .offset:         32
        .size:           2
        .value_kind:     hidden_group_size_z
      - .offset:         34
        .size:           2
        .value_kind:     hidden_remainder_x
      - .offset:         36
        .size:           2
        .value_kind:     hidden_remainder_y
      - .offset:         38
        .size:           2
        .value_kind:     hidden_remainder_z
      - .offset:         56
        .size:           8
        .value_kind:     hidden_global_offset_x
      - .offset:         64
        .size:           8
        .value_kind:     hidden_global_offset_y
      - .offset:         72
        .size:           8
        .value_kind:     hidden_global_offset_z
      - .offset:         80
        .size:           2
        .value_kind:     hidden_grid_dims
    .group_segment_fixed_size: 0
    .kernarg_segment_align: 8
    .kernarg_segment_size: 272
    .language:       OpenCL C
    .language_version:
      - 2
      - 0
    .max_flat_workgroup_size: 1024
    .name:           _Z19thread_store_kernelIN6common11custom_typeImmLb1EEEEvPT_S4_
    .private_segment_fixed_size: 0
    .sgpr_count:     18
    .sgpr_spill_count: 0
    .symbol:         _Z19thread_store_kernelIN6common11custom_typeImmLb1EEEEvPT_S4_.kd
    .uniform_work_group_size: 1
    .uses_dynamic_stack: false
    .vgpr_count:     6
    .vgpr_spill_count: 0
    .wavefront_size: 32
    .workgroup_processor_mode: 1
  - .args:
      - .address_space:  global
        .offset:         0
        .size:           8
        .value_kind:     global_buffer
      - .address_space:  global
        .offset:         8
        .size:           8
        .value_kind:     global_buffer
      - .offset:         16
        .size:           4
        .value_kind:     hidden_block_count_x
      - .offset:         20
        .size:           4
        .value_kind:     hidden_block_count_y
      - .offset:         24
        .size:           4
        .value_kind:     hidden_block_count_z
      - .offset:         28
        .size:           2
        .value_kind:     hidden_group_size_x
      - .offset:         30
        .size:           2
        .value_kind:     hidden_group_size_y
      - .offset:         32
        .size:           2
        .value_kind:     hidden_group_size_z
      - .offset:         34
        .size:           2
        .value_kind:     hidden_remainder_x
      - .offset:         36
        .size:           2
        .value_kind:     hidden_remainder_y
      - .offset:         38
        .size:           2
        .value_kind:     hidden_remainder_z
      - .offset:         56
        .size:           8
        .value_kind:     hidden_global_offset_x
      - .offset:         64
        .size:           8
        .value_kind:     hidden_global_offset_y
      - .offset:         72
        .size:           8
        .value_kind:     hidden_global_offset_z
      - .offset:         80
        .size:           2
        .value_kind:     hidden_grid_dims
    .group_segment_fixed_size: 0
    .kernarg_segment_align: 8
    .kernarg_segment_size: 272
    .language:       OpenCL C
    .language_version:
      - 2
      - 0
    .max_flat_workgroup_size: 1024
    .name:           _Z19thread_store_kernelIdEvPT_S1_
    .private_segment_fixed_size: 0
    .sgpr_count:     18
    .sgpr_spill_count: 0
    .symbol:         _Z19thread_store_kernelIdEvPT_S1_.kd
    .uniform_work_group_size: 1
    .uses_dynamic_stack: false
    .vgpr_count:     5
    .vgpr_spill_count: 0
    .wavefront_size: 32
    .workgroup_processor_mode: 1
  - .args:
      - .address_space:  global
        .offset:         0
        .size:           8
        .value_kind:     global_buffer
      - .address_space:  global
        .offset:         8
        .size:           8
        .value_kind:     global_buffer
      - .offset:         16
        .size:           4
        .value_kind:     hidden_block_count_x
      - .offset:         20
        .size:           4
        .value_kind:     hidden_block_count_y
      - .offset:         24
        .size:           4
        .value_kind:     hidden_block_count_z
      - .offset:         28
        .size:           2
        .value_kind:     hidden_group_size_x
      - .offset:         30
        .size:           2
        .value_kind:     hidden_group_size_y
      - .offset:         32
        .size:           2
        .value_kind:     hidden_group_size_z
      - .offset:         34
        .size:           2
        .value_kind:     hidden_remainder_x
      - .offset:         36
        .size:           2
        .value_kind:     hidden_remainder_y
      - .offset:         38
        .size:           2
        .value_kind:     hidden_remainder_z
      - .offset:         56
        .size:           8
        .value_kind:     hidden_global_offset_x
      - .offset:         64
        .size:           8
        .value_kind:     hidden_global_offset_y
      - .offset:         72
        .size:           8
        .value_kind:     hidden_global_offset_z
      - .offset:         80
        .size:           2
        .value_kind:     hidden_grid_dims
    .group_segment_fixed_size: 0
    .kernarg_segment_align: 8
    .kernarg_segment_size: 272
    .language:       OpenCL C
    .language_version:
      - 2
      - 0
    .max_flat_workgroup_size: 1024
    .name:           _Z19thread_store_kernelIfEvPT_S1_
    .private_segment_fixed_size: 0
    .sgpr_count:     18
    .sgpr_spill_count: 0
    .symbol:         _Z19thread_store_kernelIfEvPT_S1_.kd
    .uniform_work_group_size: 1
    .uses_dynamic_stack: false
    .vgpr_count:     5
    .vgpr_spill_count: 0
    .wavefront_size: 32
    .workgroup_processor_mode: 1
  - .args:
      - .address_space:  global
        .offset:         0
        .size:           8
        .value_kind:     global_buffer
      - .address_space:  global
        .offset:         8
        .size:           8
        .value_kind:     global_buffer
      - .offset:         16
        .size:           4
        .value_kind:     hidden_block_count_x
      - .offset:         20
        .size:           4
        .value_kind:     hidden_block_count_y
      - .offset:         24
        .size:           4
        .value_kind:     hidden_block_count_z
      - .offset:         28
        .size:           2
        .value_kind:     hidden_group_size_x
      - .offset:         30
        .size:           2
        .value_kind:     hidden_group_size_y
      - .offset:         32
        .size:           2
        .value_kind:     hidden_group_size_z
      - .offset:         34
        .size:           2
        .value_kind:     hidden_remainder_x
      - .offset:         36
        .size:           2
        .value_kind:     hidden_remainder_y
      - .offset:         38
        .size:           2
        .value_kind:     hidden_remainder_z
      - .offset:         56
        .size:           8
        .value_kind:     hidden_global_offset_x
      - .offset:         64
        .size:           8
        .value_kind:     hidden_global_offset_y
      - .offset:         72
        .size:           8
        .value_kind:     hidden_global_offset_z
      - .offset:         80
        .size:           2
        .value_kind:     hidden_grid_dims
    .group_segment_fixed_size: 0
    .kernarg_segment_align: 8
    .kernarg_segment_size: 272
    .language:       OpenCL C
    .language_version:
      - 2
      - 0
    .max_flat_workgroup_size: 1024
    .name:           _Z19thread_store_kernelI12hip_bfloat16EvPT_S2_
    .private_segment_fixed_size: 0
    .sgpr_count:     18
    .sgpr_spill_count: 0
    .symbol:         _Z19thread_store_kernelI12hip_bfloat16EvPT_S2_.kd
    .uniform_work_group_size: 1
    .uses_dynamic_stack: false
    .vgpr_count:     5
    .vgpr_spill_count: 0
    .wavefront_size: 32
    .workgroup_processor_mode: 1
  - .args:
      - .address_space:  global
        .offset:         0
        .size:           8
        .value_kind:     global_buffer
      - .address_space:  global
        .offset:         8
        .size:           8
        .value_kind:     global_buffer
      - .offset:         16
        .size:           4
        .value_kind:     hidden_block_count_x
      - .offset:         20
        .size:           4
        .value_kind:     hidden_block_count_y
      - .offset:         24
        .size:           4
        .value_kind:     hidden_block_count_z
      - .offset:         28
        .size:           2
        .value_kind:     hidden_group_size_x
      - .offset:         30
        .size:           2
        .value_kind:     hidden_group_size_y
      - .offset:         32
        .size:           2
        .value_kind:     hidden_group_size_z
      - .offset:         34
        .size:           2
        .value_kind:     hidden_remainder_x
      - .offset:         36
        .size:           2
        .value_kind:     hidden_remainder_y
      - .offset:         38
        .size:           2
        .value_kind:     hidden_remainder_z
      - .offset:         56
        .size:           8
        .value_kind:     hidden_global_offset_x
      - .offset:         64
        .size:           8
        .value_kind:     hidden_global_offset_y
      - .offset:         72
        .size:           8
        .value_kind:     hidden_global_offset_z
      - .offset:         80
        .size:           2
        .value_kind:     hidden_grid_dims
    .group_segment_fixed_size: 0
    .kernarg_segment_align: 8
    .kernarg_segment_size: 272
    .language:       OpenCL C
    .language_version:
      - 2
      - 0
    .max_flat_workgroup_size: 1024
    .name:           _Z19thread_store_kernelI6__halfEvPT_S2_
    .private_segment_fixed_size: 0
    .sgpr_count:     18
    .sgpr_spill_count: 0
    .symbol:         _Z19thread_store_kernelI6__halfEvPT_S2_.kd
    .uniform_work_group_size: 1
    .uses_dynamic_stack: false
    .vgpr_count:     5
    .vgpr_spill_count: 0
    .wavefront_size: 32
    .workgroup_processor_mode: 1
  - .args:
      - .address_space:  global
        .offset:         0
        .size:           8
        .value_kind:     global_buffer
      - .address_space:  global
        .offset:         8
        .size:           8
        .value_kind:     global_buffer
      - .offset:         16
        .size:           4
        .value_kind:     hidden_block_count_x
      - .offset:         20
        .size:           4
        .value_kind:     hidden_block_count_y
      - .offset:         24
        .size:           4
        .value_kind:     hidden_block_count_z
      - .offset:         28
        .size:           2
        .value_kind:     hidden_group_size_x
      - .offset:         30
        .size:           2
        .value_kind:     hidden_group_size_y
      - .offset:         32
        .size:           2
        .value_kind:     hidden_group_size_z
      - .offset:         34
        .size:           2
        .value_kind:     hidden_remainder_x
      - .offset:         36
        .size:           2
        .value_kind:     hidden_remainder_y
      - .offset:         38
        .size:           2
        .value_kind:     hidden_remainder_z
      - .offset:         56
        .size:           8
        .value_kind:     hidden_global_offset_x
      - .offset:         64
        .size:           8
        .value_kind:     hidden_global_offset_y
      - .offset:         72
        .size:           8
        .value_kind:     hidden_global_offset_z
      - .offset:         80
        .size:           2
        .value_kind:     hidden_grid_dims
    .group_segment_fixed_size: 0
    .kernarg_segment_align: 8
    .kernarg_segment_size: 272
    .language:       OpenCL C
    .language_version:
      - 2
      - 0
    .max_flat_workgroup_size: 1024
    .name:           _Z19thread_store_kernelIiEvPT_S1_
    .private_segment_fixed_size: 0
    .sgpr_count:     18
    .sgpr_spill_count: 0
    .symbol:         _Z19thread_store_kernelIiEvPT_S1_.kd
    .uniform_work_group_size: 1
    .uses_dynamic_stack: false
    .vgpr_count:     5
    .vgpr_spill_count: 0
    .wavefront_size: 32
    .workgroup_processor_mode: 1
  - .args:
      - .address_space:  global
        .offset:         0
        .size:           8
        .value_kind:     global_buffer
      - .address_space:  global
        .offset:         8
        .size:           8
        .value_kind:     global_buffer
      - .offset:         16
        .size:           4
        .value_kind:     hidden_block_count_x
      - .offset:         20
        .size:           4
        .value_kind:     hidden_block_count_y
      - .offset:         24
        .size:           4
        .value_kind:     hidden_block_count_z
      - .offset:         28
        .size:           2
        .value_kind:     hidden_group_size_x
      - .offset:         30
        .size:           2
        .value_kind:     hidden_group_size_y
      - .offset:         32
        .size:           2
        .value_kind:     hidden_group_size_z
      - .offset:         34
        .size:           2
        .value_kind:     hidden_remainder_x
      - .offset:         36
        .size:           2
        .value_kind:     hidden_remainder_y
      - .offset:         38
        .size:           2
        .value_kind:     hidden_remainder_z
      - .offset:         56
        .size:           8
        .value_kind:     hidden_global_offset_x
      - .offset:         64
        .size:           8
        .value_kind:     hidden_global_offset_y
      - .offset:         72
        .size:           8
        .value_kind:     hidden_global_offset_z
      - .offset:         80
        .size:           2
        .value_kind:     hidden_grid_dims
    .group_segment_fixed_size: 0
    .kernarg_segment_align: 8
    .kernarg_segment_size: 272
    .language:       OpenCL C
    .language_version:
      - 2
      - 0
    .max_flat_workgroup_size: 1024
    .name:           _Z19thread_store_kernelImEvPT_S1_
    .private_segment_fixed_size: 0
    .sgpr_count:     18
    .sgpr_spill_count: 0
    .symbol:         _Z19thread_store_kernelImEvPT_S1_.kd
    .uniform_work_group_size: 1
    .uses_dynamic_stack: false
    .vgpr_count:     5
    .vgpr_spill_count: 0
    .wavefront_size: 32
    .workgroup_processor_mode: 1
  - .args:
      - .address_space:  global
        .offset:         0
        .size:           8
        .value_kind:     global_buffer
      - .address_space:  global
        .offset:         8
        .size:           8
        .value_kind:     global_buffer
      - .offset:         16
        .size:           4
        .value_kind:     hidden_block_count_x
      - .offset:         20
        .size:           4
        .value_kind:     hidden_block_count_y
      - .offset:         24
        .size:           4
        .value_kind:     hidden_block_count_z
      - .offset:         28
        .size:           2
        .value_kind:     hidden_group_size_x
      - .offset:         30
        .size:           2
        .value_kind:     hidden_group_size_y
      - .offset:         32
        .size:           2
        .value_kind:     hidden_group_size_z
      - .offset:         34
        .size:           2
        .value_kind:     hidden_remainder_x
      - .offset:         36
        .size:           2
        .value_kind:     hidden_remainder_y
      - .offset:         38
        .size:           2
        .value_kind:     hidden_remainder_z
      - .offset:         56
        .size:           8
        .value_kind:     hidden_global_offset_x
      - .offset:         64
        .size:           8
        .value_kind:     hidden_global_offset_y
      - .offset:         72
        .size:           8
        .value_kind:     hidden_global_offset_z
      - .offset:         80
        .size:           2
        .value_kind:     hidden_grid_dims
    .group_segment_fixed_size: 0
    .kernarg_segment_align: 8
    .kernarg_segment_size: 272
    .language:       OpenCL C
    .language_version:
      - 2
      - 0
    .max_flat_workgroup_size: 1024
    .name:           _Z19thread_store_kernelIjEvPT_S1_
    .private_segment_fixed_size: 0
    .sgpr_count:     18
    .sgpr_spill_count: 0
    .symbol:         _Z19thread_store_kernelIjEvPT_S1_.kd
    .uniform_work_group_size: 1
    .uses_dynamic_stack: false
    .vgpr_count:     5
    .vgpr_spill_count: 0
    .wavefront_size: 32
    .workgroup_processor_mode: 1
  - .args:
      - .address_space:  global
        .offset:         0
        .size:           8
        .value_kind:     global_buffer
      - .address_space:  global
        .offset:         8
        .size:           8
        .value_kind:     global_buffer
      - .offset:         16
        .size:           4
        .value_kind:     hidden_block_count_x
      - .offset:         20
        .size:           4
        .value_kind:     hidden_block_count_y
      - .offset:         24
        .size:           4
        .value_kind:     hidden_block_count_z
      - .offset:         28
        .size:           2
        .value_kind:     hidden_group_size_x
      - .offset:         30
        .size:           2
        .value_kind:     hidden_group_size_y
      - .offset:         32
        .size:           2
        .value_kind:     hidden_group_size_z
      - .offset:         34
        .size:           2
        .value_kind:     hidden_remainder_x
      - .offset:         36
        .size:           2
        .value_kind:     hidden_remainder_y
      - .offset:         38
        .size:           2
        .value_kind:     hidden_remainder_z
      - .offset:         56
        .size:           8
        .value_kind:     hidden_global_offset_x
      - .offset:         64
        .size:           8
        .value_kind:     hidden_global_offset_y
      - .offset:         72
        .size:           8
        .value_kind:     hidden_global_offset_z
      - .offset:         80
        .size:           2
        .value_kind:     hidden_grid_dims
    .group_segment_fixed_size: 0
    .kernarg_segment_align: 8
    .kernarg_segment_size: 272
    .language:       OpenCL C
    .language_version:
      - 2
      - 0
    .max_flat_workgroup_size: 1024
    .name:           _Z19thread_store_kernelItEvPT_S1_
    .private_segment_fixed_size: 0
    .sgpr_count:     18
    .sgpr_spill_count: 0
    .symbol:         _Z19thread_store_kernelItEvPT_S1_.kd
    .uniform_work_group_size: 1
    .uses_dynamic_stack: false
    .vgpr_count:     5
    .vgpr_spill_count: 0
    .wavefront_size: 32
    .workgroup_processor_mode: 1
  - .args:
      - .address_space:  global
        .offset:         0
        .size:           8
        .value_kind:     global_buffer
      - .address_space:  global
        .offset:         8
        .size:           8
        .value_kind:     global_buffer
      - .offset:         16
        .size:           4
        .value_kind:     hidden_block_count_x
      - .offset:         20
        .size:           4
        .value_kind:     hidden_block_count_y
      - .offset:         24
        .size:           4
        .value_kind:     hidden_block_count_z
      - .offset:         28
        .size:           2
        .value_kind:     hidden_group_size_x
      - .offset:         30
        .size:           2
        .value_kind:     hidden_group_size_y
      - .offset:         32
        .size:           2
        .value_kind:     hidden_group_size_z
      - .offset:         34
        .size:           2
        .value_kind:     hidden_remainder_x
      - .offset:         36
        .size:           2
        .value_kind:     hidden_remainder_y
      - .offset:         38
        .size:           2
        .value_kind:     hidden_remainder_z
      - .offset:         56
        .size:           8
        .value_kind:     hidden_global_offset_x
      - .offset:         64
        .size:           8
        .value_kind:     hidden_global_offset_y
      - .offset:         72
        .size:           8
        .value_kind:     hidden_global_offset_z
      - .offset:         80
        .size:           2
        .value_kind:     hidden_grid_dims
    .group_segment_fixed_size: 0
    .kernarg_segment_align: 8
    .kernarg_segment_size: 272
    .language:       OpenCL C
    .language_version:
      - 2
      - 0
    .max_flat_workgroup_size: 1024
    .name:           _Z19thread_store_kernelIhEvPT_S1_
    .private_segment_fixed_size: 0
    .sgpr_count:     16
    .sgpr_spill_count: 0
    .symbol:         _Z19thread_store_kernelIhEvPT_S1_.kd
    .uniform_work_group_size: 1
    .uses_dynamic_stack: false
    .vgpr_count:     4
    .vgpr_spill_count: 0
    .wavefront_size: 32
    .workgroup_processor_mode: 1
  - .args:
      - .address_space:  global
        .offset:         0
        .size:           8
        .value_kind:     global_buffer
      - .address_space:  global
        .offset:         8
        .size:           8
        .value_kind:     global_buffer
      - .offset:         16
        .size:           4
        .value_kind:     hidden_block_count_x
      - .offset:         20
        .size:           4
        .value_kind:     hidden_block_count_y
      - .offset:         24
        .size:           4
        .value_kind:     hidden_block_count_z
      - .offset:         28
        .size:           2
        .value_kind:     hidden_group_size_x
      - .offset:         30
        .size:           2
        .value_kind:     hidden_group_size_y
      - .offset:         32
        .size:           2
        .value_kind:     hidden_group_size_z
      - .offset:         34
        .size:           2
        .value_kind:     hidden_remainder_x
      - .offset:         36
        .size:           2
        .value_kind:     hidden_remainder_y
      - .offset:         38
        .size:           2
        .value_kind:     hidden_remainder_z
      - .offset:         56
        .size:           8
        .value_kind:     hidden_global_offset_x
      - .offset:         64
        .size:           8
        .value_kind:     hidden_global_offset_y
      - .offset:         72
        .size:           8
        .value_kind:     hidden_global_offset_z
      - .offset:         80
        .size:           2
        .value_kind:     hidden_grid_dims
    .group_segment_fixed_size: 0
    .kernarg_segment_align: 8
    .kernarg_segment_size: 272
    .language:       OpenCL C
    .language_version:
      - 2
      - 0
    .max_flat_workgroup_size: 1024
    .name:           _Z20thread_reduce_kernelIoLi4EEvPT_S1_
    .private_segment_fixed_size: 0
    .sgpr_count:     18
    .sgpr_spill_count: 0
    .symbol:         _Z20thread_reduce_kernelIoLi4EEvPT_S1_.kd
    .uniform_work_group_size: 1
    .uses_dynamic_stack: false
    .vgpr_count:     18
    .vgpr_spill_count: 0
    .wavefront_size: 32
    .workgroup_processor_mode: 1
  - .args:
      - .address_space:  global
        .offset:         0
        .size:           8
        .value_kind:     global_buffer
      - .address_space:  global
        .offset:         8
        .size:           8
        .value_kind:     global_buffer
      - .offset:         16
        .size:           4
        .value_kind:     hidden_block_count_x
      - .offset:         20
        .size:           4
        .value_kind:     hidden_block_count_y
      - .offset:         24
        .size:           4
        .value_kind:     hidden_block_count_z
      - .offset:         28
        .size:           2
        .value_kind:     hidden_group_size_x
      - .offset:         30
        .size:           2
        .value_kind:     hidden_group_size_y
      - .offset:         32
        .size:           2
        .value_kind:     hidden_group_size_z
      - .offset:         34
        .size:           2
        .value_kind:     hidden_remainder_x
      - .offset:         36
        .size:           2
        .value_kind:     hidden_remainder_y
      - .offset:         38
        .size:           2
        .value_kind:     hidden_remainder_z
      - .offset:         56
        .size:           8
        .value_kind:     hidden_global_offset_x
      - .offset:         64
        .size:           8
        .value_kind:     hidden_global_offset_y
      - .offset:         72
        .size:           8
        .value_kind:     hidden_global_offset_z
      - .offset:         80
        .size:           2
        .value_kind:     hidden_grid_dims
    .group_segment_fixed_size: 0
    .kernarg_segment_align: 8
    .kernarg_segment_size: 272
    .language:       OpenCL C
    .language_version:
      - 2
      - 0
    .max_flat_workgroup_size: 1024
    .name:           _Z20thread_reduce_kernelIN6common11custom_typeIddLb1EEELi4EEvPT_S4_
    .private_segment_fixed_size: 0
    .sgpr_count:     18
    .sgpr_spill_count: 0
    .symbol:         _Z20thread_reduce_kernelIN6common11custom_typeIddLb1EEELi4EEvPT_S4_.kd
    .uniform_work_group_size: 1
    .uses_dynamic_stack: false
    .vgpr_count:     18
    .vgpr_spill_count: 0
    .wavefront_size: 32
    .workgroup_processor_mode: 1
  - .args:
      - .address_space:  global
        .offset:         0
        .size:           8
        .value_kind:     global_buffer
      - .address_space:  global
        .offset:         8
        .size:           8
        .value_kind:     global_buffer
      - .offset:         16
        .size:           4
        .value_kind:     hidden_block_count_x
      - .offset:         20
        .size:           4
        .value_kind:     hidden_block_count_y
      - .offset:         24
        .size:           4
        .value_kind:     hidden_block_count_z
      - .offset:         28
        .size:           2
        .value_kind:     hidden_group_size_x
      - .offset:         30
        .size:           2
        .value_kind:     hidden_group_size_y
      - .offset:         32
        .size:           2
        .value_kind:     hidden_group_size_z
      - .offset:         34
        .size:           2
        .value_kind:     hidden_remainder_x
      - .offset:         36
        .size:           2
        .value_kind:     hidden_remainder_y
      - .offset:         38
        .size:           2
        .value_kind:     hidden_remainder_z
      - .offset:         56
        .size:           8
        .value_kind:     hidden_global_offset_x
      - .offset:         64
        .size:           8
        .value_kind:     hidden_global_offset_y
      - .offset:         72
        .size:           8
        .value_kind:     hidden_global_offset_z
      - .offset:         80
        .size:           2
        .value_kind:     hidden_grid_dims
    .group_segment_fixed_size: 0
    .kernarg_segment_align: 8
    .kernarg_segment_size: 272
    .language:       OpenCL C
    .language_version:
      - 2
      - 0
    .max_flat_workgroup_size: 1024
    .name:           _Z20thread_reduce_kernelIN6common11custom_typeImmLb1EEELi4EEvPT_S4_
    .private_segment_fixed_size: 0
    .sgpr_count:     18
    .sgpr_spill_count: 0
    .symbol:         _Z20thread_reduce_kernelIN6common11custom_typeImmLb1EEELi4EEvPT_S4_.kd
    .uniform_work_group_size: 1
    .uses_dynamic_stack: false
    .vgpr_count:     18
    .vgpr_spill_count: 0
    .wavefront_size: 32
    .workgroup_processor_mode: 1
  - .args:
      - .address_space:  global
        .offset:         0
        .size:           8
        .value_kind:     global_buffer
      - .address_space:  global
        .offset:         8
        .size:           8
        .value_kind:     global_buffer
      - .offset:         16
        .size:           4
        .value_kind:     hidden_block_count_x
      - .offset:         20
        .size:           4
        .value_kind:     hidden_block_count_y
      - .offset:         24
        .size:           4
        .value_kind:     hidden_block_count_z
      - .offset:         28
        .size:           2
        .value_kind:     hidden_group_size_x
      - .offset:         30
        .size:           2
        .value_kind:     hidden_group_size_y
      - .offset:         32
        .size:           2
        .value_kind:     hidden_group_size_z
      - .offset:         34
        .size:           2
        .value_kind:     hidden_remainder_x
      - .offset:         36
        .size:           2
        .value_kind:     hidden_remainder_y
      - .offset:         38
        .size:           2
        .value_kind:     hidden_remainder_z
      - .offset:         56
        .size:           8
        .value_kind:     hidden_global_offset_x
      - .offset:         64
        .size:           8
        .value_kind:     hidden_global_offset_y
      - .offset:         72
        .size:           8
        .value_kind:     hidden_global_offset_z
      - .offset:         80
        .size:           2
        .value_kind:     hidden_grid_dims
    .group_segment_fixed_size: 0
    .kernarg_segment_align: 8
    .kernarg_segment_size: 272
    .language:       OpenCL C
    .language_version:
      - 2
      - 0
    .max_flat_workgroup_size: 1024
    .name:           _Z20thread_reduce_kernelIdLi4EEvPT_S1_
    .private_segment_fixed_size: 0
    .sgpr_count:     18
    .sgpr_spill_count: 0
    .symbol:         _Z20thread_reduce_kernelIdLi4EEvPT_S1_.kd
    .uniform_work_group_size: 1
    .uses_dynamic_stack: false
    .vgpr_count:     10
    .vgpr_spill_count: 0
    .wavefront_size: 32
    .workgroup_processor_mode: 1
  - .args:
      - .address_space:  global
        .offset:         0
        .size:           8
        .value_kind:     global_buffer
      - .address_space:  global
        .offset:         8
        .size:           8
        .value_kind:     global_buffer
      - .offset:         16
        .size:           4
        .value_kind:     hidden_block_count_x
      - .offset:         20
        .size:           4
        .value_kind:     hidden_block_count_y
      - .offset:         24
        .size:           4
        .value_kind:     hidden_block_count_z
      - .offset:         28
        .size:           2
        .value_kind:     hidden_group_size_x
      - .offset:         30
        .size:           2
        .value_kind:     hidden_group_size_y
      - .offset:         32
        .size:           2
        .value_kind:     hidden_group_size_z
      - .offset:         34
        .size:           2
        .value_kind:     hidden_remainder_x
      - .offset:         36
        .size:           2
        .value_kind:     hidden_remainder_y
      - .offset:         38
        .size:           2
        .value_kind:     hidden_remainder_z
      - .offset:         56
        .size:           8
        .value_kind:     hidden_global_offset_x
      - .offset:         64
        .size:           8
        .value_kind:     hidden_global_offset_y
      - .offset:         72
        .size:           8
        .value_kind:     hidden_global_offset_z
      - .offset:         80
        .size:           2
        .value_kind:     hidden_grid_dims
    .group_segment_fixed_size: 0
    .kernarg_segment_align: 8
    .kernarg_segment_size: 272
    .language:       OpenCL C
    .language_version:
      - 2
      - 0
    .max_flat_workgroup_size: 1024
    .name:           _Z20thread_reduce_kernelIfLi4EEvPT_S1_
    .private_segment_fixed_size: 0
    .sgpr_count:     18
    .sgpr_spill_count: 0
    .symbol:         _Z20thread_reduce_kernelIfLi4EEvPT_S1_.kd
    .uniform_work_group_size: 1
    .uses_dynamic_stack: false
    .vgpr_count:     6
    .vgpr_spill_count: 0
    .wavefront_size: 32
    .workgroup_processor_mode: 1
  - .args:
      - .address_space:  global
        .offset:         0
        .size:           8
        .value_kind:     global_buffer
      - .address_space:  global
        .offset:         8
        .size:           8
        .value_kind:     global_buffer
      - .offset:         16
        .size:           4
        .value_kind:     hidden_block_count_x
      - .offset:         20
        .size:           4
        .value_kind:     hidden_block_count_y
      - .offset:         24
        .size:           4
        .value_kind:     hidden_block_count_z
      - .offset:         28
        .size:           2
        .value_kind:     hidden_group_size_x
      - .offset:         30
        .size:           2
        .value_kind:     hidden_group_size_y
      - .offset:         32
        .size:           2
        .value_kind:     hidden_group_size_z
      - .offset:         34
        .size:           2
        .value_kind:     hidden_remainder_x
      - .offset:         36
        .size:           2
        .value_kind:     hidden_remainder_y
      - .offset:         38
        .size:           2
        .value_kind:     hidden_remainder_z
      - .offset:         56
        .size:           8
        .value_kind:     hidden_global_offset_x
      - .offset:         64
        .size:           8
        .value_kind:     hidden_global_offset_y
      - .offset:         72
        .size:           8
        .value_kind:     hidden_global_offset_z
      - .offset:         80
        .size:           2
        .value_kind:     hidden_grid_dims
    .group_segment_fixed_size: 0
    .kernarg_segment_align: 8
    .kernarg_segment_size: 272
    .language:       OpenCL C
    .language_version:
      - 2
      - 0
    .max_flat_workgroup_size: 1024
    .name:           _Z20thread_reduce_kernelI12hip_bfloat16Li4EEvPT_S2_
    .private_segment_fixed_size: 0
    .sgpr_count:     18
    .sgpr_spill_count: 0
    .symbol:         _Z20thread_reduce_kernelI12hip_bfloat16Li4EEvPT_S2_.kd
    .uniform_work_group_size: 1
    .uses_dynamic_stack: false
    .vgpr_count:     7
    .vgpr_spill_count: 0
    .wavefront_size: 32
    .workgroup_processor_mode: 1
  - .args:
      - .address_space:  global
        .offset:         0
        .size:           8
        .value_kind:     global_buffer
      - .address_space:  global
        .offset:         8
        .size:           8
        .value_kind:     global_buffer
      - .offset:         16
        .size:           4
        .value_kind:     hidden_block_count_x
      - .offset:         20
        .size:           4
        .value_kind:     hidden_block_count_y
      - .offset:         24
        .size:           4
        .value_kind:     hidden_block_count_z
      - .offset:         28
        .size:           2
        .value_kind:     hidden_group_size_x
      - .offset:         30
        .size:           2
        .value_kind:     hidden_group_size_y
      - .offset:         32
        .size:           2
        .value_kind:     hidden_group_size_z
      - .offset:         34
        .size:           2
        .value_kind:     hidden_remainder_x
      - .offset:         36
        .size:           2
        .value_kind:     hidden_remainder_y
      - .offset:         38
        .size:           2
        .value_kind:     hidden_remainder_z
      - .offset:         56
        .size:           8
        .value_kind:     hidden_global_offset_x
      - .offset:         64
        .size:           8
        .value_kind:     hidden_global_offset_y
      - .offset:         72
        .size:           8
        .value_kind:     hidden_global_offset_z
      - .offset:         80
        .size:           2
        .value_kind:     hidden_grid_dims
    .group_segment_fixed_size: 0
    .kernarg_segment_align: 8
    .kernarg_segment_size: 272
    .language:       OpenCL C
    .language_version:
      - 2
      - 0
    .max_flat_workgroup_size: 1024
    .name:           _Z20thread_reduce_kernelI6__halfLi4EEvPT_S2_
    .private_segment_fixed_size: 0
    .sgpr_count:     18
    .sgpr_spill_count: 0
    .symbol:         _Z20thread_reduce_kernelI6__halfLi4EEvPT_S2_.kd
    .uniform_work_group_size: 1
    .uses_dynamic_stack: false
    .vgpr_count:     5
    .vgpr_spill_count: 0
    .wavefront_size: 32
    .workgroup_processor_mode: 1
  - .args:
      - .address_space:  global
        .offset:         0
        .size:           8
        .value_kind:     global_buffer
      - .address_space:  global
        .offset:         8
        .size:           8
        .value_kind:     global_buffer
      - .offset:         16
        .size:           4
        .value_kind:     hidden_block_count_x
      - .offset:         20
        .size:           4
        .value_kind:     hidden_block_count_y
      - .offset:         24
        .size:           4
        .value_kind:     hidden_block_count_z
      - .offset:         28
        .size:           2
        .value_kind:     hidden_group_size_x
      - .offset:         30
        .size:           2
        .value_kind:     hidden_group_size_y
      - .offset:         32
        .size:           2
        .value_kind:     hidden_group_size_z
      - .offset:         34
        .size:           2
        .value_kind:     hidden_remainder_x
      - .offset:         36
        .size:           2
        .value_kind:     hidden_remainder_y
      - .offset:         38
        .size:           2
        .value_kind:     hidden_remainder_z
      - .offset:         56
        .size:           8
        .value_kind:     hidden_global_offset_x
      - .offset:         64
        .size:           8
        .value_kind:     hidden_global_offset_y
      - .offset:         72
        .size:           8
        .value_kind:     hidden_global_offset_z
      - .offset:         80
        .size:           2
        .value_kind:     hidden_grid_dims
    .group_segment_fixed_size: 0
    .kernarg_segment_align: 8
    .kernarg_segment_size: 272
    .language:       OpenCL C
    .language_version:
      - 2
      - 0
    .max_flat_workgroup_size: 1024
    .name:           _Z20thread_reduce_kernelIiLi4EEvPT_S1_
    .private_segment_fixed_size: 0
    .sgpr_count:     18
    .sgpr_spill_count: 0
    .symbol:         _Z20thread_reduce_kernelIiLi4EEvPT_S1_.kd
    .uniform_work_group_size: 1
    .uses_dynamic_stack: false
    .vgpr_count:     6
    .vgpr_spill_count: 0
    .wavefront_size: 32
    .workgroup_processor_mode: 1
  - .args:
      - .address_space:  global
        .offset:         0
        .size:           8
        .value_kind:     global_buffer
      - .address_space:  global
        .offset:         8
        .size:           8
        .value_kind:     global_buffer
      - .offset:         16
        .size:           4
        .value_kind:     hidden_block_count_x
      - .offset:         20
        .size:           4
        .value_kind:     hidden_block_count_y
      - .offset:         24
        .size:           4
        .value_kind:     hidden_block_count_z
      - .offset:         28
        .size:           2
        .value_kind:     hidden_group_size_x
      - .offset:         30
        .size:           2
        .value_kind:     hidden_group_size_y
      - .offset:         32
        .size:           2
        .value_kind:     hidden_group_size_z
      - .offset:         34
        .size:           2
        .value_kind:     hidden_remainder_x
      - .offset:         36
        .size:           2
        .value_kind:     hidden_remainder_y
      - .offset:         38
        .size:           2
        .value_kind:     hidden_remainder_z
      - .offset:         56
        .size:           8
        .value_kind:     hidden_global_offset_x
      - .offset:         64
        .size:           8
        .value_kind:     hidden_global_offset_y
      - .offset:         72
        .size:           8
        .value_kind:     hidden_global_offset_z
      - .offset:         80
        .size:           2
        .value_kind:     hidden_grid_dims
    .group_segment_fixed_size: 0
    .kernarg_segment_align: 8
    .kernarg_segment_size: 272
    .language:       OpenCL C
    .language_version:
      - 2
      - 0
    .max_flat_workgroup_size: 1024
    .name:           _Z20thread_reduce_kernelImLi4EEvPT_S1_
    .private_segment_fixed_size: 0
    .sgpr_count:     18
    .sgpr_spill_count: 0
    .symbol:         _Z20thread_reduce_kernelImLi4EEvPT_S1_.kd
    .uniform_work_group_size: 1
    .uses_dynamic_stack: false
    .vgpr_count:     10
    .vgpr_spill_count: 0
    .wavefront_size: 32
    .workgroup_processor_mode: 1
  - .args:
      - .address_space:  global
        .offset:         0
        .size:           8
        .value_kind:     global_buffer
      - .address_space:  global
        .offset:         8
        .size:           8
        .value_kind:     global_buffer
      - .offset:         16
        .size:           4
        .value_kind:     hidden_block_count_x
      - .offset:         20
        .size:           4
        .value_kind:     hidden_block_count_y
      - .offset:         24
        .size:           4
        .value_kind:     hidden_block_count_z
      - .offset:         28
        .size:           2
        .value_kind:     hidden_group_size_x
      - .offset:         30
        .size:           2
        .value_kind:     hidden_group_size_y
      - .offset:         32
        .size:           2
        .value_kind:     hidden_group_size_z
      - .offset:         34
        .size:           2
        .value_kind:     hidden_remainder_x
      - .offset:         36
        .size:           2
        .value_kind:     hidden_remainder_y
      - .offset:         38
        .size:           2
        .value_kind:     hidden_remainder_z
      - .offset:         56
        .size:           8
        .value_kind:     hidden_global_offset_x
      - .offset:         64
        .size:           8
        .value_kind:     hidden_global_offset_y
      - .offset:         72
        .size:           8
        .value_kind:     hidden_global_offset_z
      - .offset:         80
        .size:           2
        .value_kind:     hidden_grid_dims
    .group_segment_fixed_size: 0
    .kernarg_segment_align: 8
    .kernarg_segment_size: 272
    .language:       OpenCL C
    .language_version:
      - 2
      - 0
    .max_flat_workgroup_size: 1024
    .name:           _Z20thread_reduce_kernelIjLi4EEvPT_S1_
    .private_segment_fixed_size: 0
    .sgpr_count:     18
    .sgpr_spill_count: 0
    .symbol:         _Z20thread_reduce_kernelIjLi4EEvPT_S1_.kd
    .uniform_work_group_size: 1
    .uses_dynamic_stack: false
    .vgpr_count:     6
    .vgpr_spill_count: 0
    .wavefront_size: 32
    .workgroup_processor_mode: 1
  - .args:
      - .address_space:  global
        .offset:         0
        .size:           8
        .value_kind:     global_buffer
      - .address_space:  global
        .offset:         8
        .size:           8
        .value_kind:     global_buffer
      - .offset:         16
        .size:           4
        .value_kind:     hidden_block_count_x
      - .offset:         20
        .size:           4
        .value_kind:     hidden_block_count_y
      - .offset:         24
        .size:           4
        .value_kind:     hidden_block_count_z
      - .offset:         28
        .size:           2
        .value_kind:     hidden_group_size_x
      - .offset:         30
        .size:           2
        .value_kind:     hidden_group_size_y
      - .offset:         32
        .size:           2
        .value_kind:     hidden_group_size_z
      - .offset:         34
        .size:           2
        .value_kind:     hidden_remainder_x
      - .offset:         36
        .size:           2
        .value_kind:     hidden_remainder_y
      - .offset:         38
        .size:           2
        .value_kind:     hidden_remainder_z
      - .offset:         56
        .size:           8
        .value_kind:     hidden_global_offset_x
      - .offset:         64
        .size:           8
        .value_kind:     hidden_global_offset_y
      - .offset:         72
        .size:           8
        .value_kind:     hidden_global_offset_z
      - .offset:         80
        .size:           2
        .value_kind:     hidden_grid_dims
    .group_segment_fixed_size: 0
    .kernarg_segment_align: 8
    .kernarg_segment_size: 272
    .language:       OpenCL C
    .language_version:
      - 2
      - 0
    .max_flat_workgroup_size: 1024
    .name:           _Z20thread_reduce_kernelItLi4EEvPT_S1_
    .private_segment_fixed_size: 0
    .sgpr_count:     18
    .sgpr_spill_count: 0
    .symbol:         _Z20thread_reduce_kernelItLi4EEvPT_S1_.kd
    .uniform_work_group_size: 1
    .uses_dynamic_stack: false
    .vgpr_count:     4
    .vgpr_spill_count: 0
    .wavefront_size: 32
    .workgroup_processor_mode: 1
  - .args:
      - .address_space:  global
        .offset:         0
        .size:           8
        .value_kind:     global_buffer
      - .address_space:  global
        .offset:         8
        .size:           8
        .value_kind:     global_buffer
      - .offset:         16
        .size:           4
        .value_kind:     hidden_block_count_x
      - .offset:         20
        .size:           4
        .value_kind:     hidden_block_count_y
      - .offset:         24
        .size:           4
        .value_kind:     hidden_block_count_z
      - .offset:         28
        .size:           2
        .value_kind:     hidden_group_size_x
      - .offset:         30
        .size:           2
        .value_kind:     hidden_group_size_y
      - .offset:         32
        .size:           2
        .value_kind:     hidden_group_size_z
      - .offset:         34
        .size:           2
        .value_kind:     hidden_remainder_x
      - .offset:         36
        .size:           2
        .value_kind:     hidden_remainder_y
      - .offset:         38
        .size:           2
        .value_kind:     hidden_remainder_z
      - .offset:         56
        .size:           8
        .value_kind:     hidden_global_offset_x
      - .offset:         64
        .size:           8
        .value_kind:     hidden_global_offset_y
      - .offset:         72
        .size:           8
        .value_kind:     hidden_global_offset_z
      - .offset:         80
        .size:           2
        .value_kind:     hidden_grid_dims
    .group_segment_fixed_size: 0
    .kernarg_segment_align: 8
    .kernarg_segment_size: 272
    .language:       OpenCL C
    .language_version:
      - 2
      - 0
    .max_flat_workgroup_size: 1024
    .name:           _Z20thread_reduce_kernelIhLi4EEvPT_S1_
    .private_segment_fixed_size: 0
    .sgpr_count:     16
    .sgpr_spill_count: 0
    .symbol:         _Z20thread_reduce_kernelIhLi4EEvPT_S1_.kd
    .uniform_work_group_size: 1
    .uses_dynamic_stack: false
    .vgpr_count:     4
    .vgpr_spill_count: 0
    .wavefront_size: 32
    .workgroup_processor_mode: 1
  - .args:
      - .address_space:  global
        .offset:         0
        .size:           8
        .value_kind:     global_buffer
      - .address_space:  global
        .offset:         8
        .size:           8
        .value_kind:     global_buffer
      - .offset:         16
        .size:           4
        .value_kind:     hidden_block_count_x
      - .offset:         20
        .size:           4
        .value_kind:     hidden_block_count_y
      - .offset:         24
        .size:           4
        .value_kind:     hidden_block_count_z
      - .offset:         28
        .size:           2
        .value_kind:     hidden_group_size_x
      - .offset:         30
        .size:           2
        .value_kind:     hidden_group_size_y
      - .offset:         32
        .size:           2
        .value_kind:     hidden_group_size_z
      - .offset:         34
        .size:           2
        .value_kind:     hidden_remainder_x
      - .offset:         36
        .size:           2
        .value_kind:     hidden_remainder_y
      - .offset:         38
        .size:           2
        .value_kind:     hidden_remainder_z
      - .offset:         56
        .size:           8
        .value_kind:     hidden_global_offset_x
      - .offset:         64
        .size:           8
        .value_kind:     hidden_global_offset_y
      - .offset:         72
        .size:           8
        .value_kind:     hidden_global_offset_z
      - .offset:         80
        .size:           2
        .value_kind:     hidden_grid_dims
    .group_segment_fixed_size: 0
    .kernarg_segment_align: 8
    .kernarg_segment_size: 272
    .language:       OpenCL C
    .language_version:
      - 2
      - 0
    .max_flat_workgroup_size: 1024
    .name:           _Z18thread_scan_kernelIoLi4EEvPT_S1_
    .private_segment_fixed_size: 0
    .sgpr_count:     18
    .sgpr_spill_count: 0
    .symbol:         _Z18thread_scan_kernelIoLi4EEvPT_S1_.kd
    .uniform_work_group_size: 1
    .uses_dynamic_stack: false
    .vgpr_count:     12
    .vgpr_spill_count: 0
    .wavefront_size: 32
    .workgroup_processor_mode: 1
  - .args:
      - .address_space:  global
        .offset:         0
        .size:           8
        .value_kind:     global_buffer
      - .address_space:  global
        .offset:         8
        .size:           8
        .value_kind:     global_buffer
      - .offset:         16
        .size:           4
        .value_kind:     hidden_block_count_x
      - .offset:         20
        .size:           4
        .value_kind:     hidden_block_count_y
      - .offset:         24
        .size:           4
        .value_kind:     hidden_block_count_z
      - .offset:         28
        .size:           2
        .value_kind:     hidden_group_size_x
      - .offset:         30
        .size:           2
        .value_kind:     hidden_group_size_y
      - .offset:         32
        .size:           2
        .value_kind:     hidden_group_size_z
      - .offset:         34
        .size:           2
        .value_kind:     hidden_remainder_x
      - .offset:         36
        .size:           2
        .value_kind:     hidden_remainder_y
      - .offset:         38
        .size:           2
        .value_kind:     hidden_remainder_z
      - .offset:         56
        .size:           8
        .value_kind:     hidden_global_offset_x
      - .offset:         64
        .size:           8
        .value_kind:     hidden_global_offset_y
      - .offset:         72
        .size:           8
        .value_kind:     hidden_global_offset_z
      - .offset:         80
        .size:           2
        .value_kind:     hidden_grid_dims
    .group_segment_fixed_size: 0
    .kernarg_segment_align: 8
    .kernarg_segment_size: 272
    .language:       OpenCL C
    .language_version:
      - 2
      - 0
    .max_flat_workgroup_size: 1024
    .name:           _Z18thread_scan_kernelIN6common11custom_typeIddLb1EEELi4EEvPT_S4_
    .private_segment_fixed_size: 0
    .sgpr_count:     18
    .sgpr_spill_count: 0
    .symbol:         _Z18thread_scan_kernelIN6common11custom_typeIddLb1EEELi4EEvPT_S4_.kd
    .uniform_work_group_size: 1
    .uses_dynamic_stack: false
    .vgpr_count:     12
    .vgpr_spill_count: 0
    .wavefront_size: 32
    .workgroup_processor_mode: 1
  - .args:
      - .address_space:  global
        .offset:         0
        .size:           8
        .value_kind:     global_buffer
      - .address_space:  global
        .offset:         8
        .size:           8
        .value_kind:     global_buffer
      - .offset:         16
        .size:           4
        .value_kind:     hidden_block_count_x
      - .offset:         20
        .size:           4
        .value_kind:     hidden_block_count_y
      - .offset:         24
        .size:           4
        .value_kind:     hidden_block_count_z
      - .offset:         28
        .size:           2
        .value_kind:     hidden_group_size_x
      - .offset:         30
        .size:           2
        .value_kind:     hidden_group_size_y
      - .offset:         32
        .size:           2
        .value_kind:     hidden_group_size_z
      - .offset:         34
        .size:           2
        .value_kind:     hidden_remainder_x
      - .offset:         36
        .size:           2
        .value_kind:     hidden_remainder_y
      - .offset:         38
        .size:           2
        .value_kind:     hidden_remainder_z
      - .offset:         56
        .size:           8
        .value_kind:     hidden_global_offset_x
      - .offset:         64
        .size:           8
        .value_kind:     hidden_global_offset_y
      - .offset:         72
        .size:           8
        .value_kind:     hidden_global_offset_z
      - .offset:         80
        .size:           2
        .value_kind:     hidden_grid_dims
    .group_segment_fixed_size: 0
    .kernarg_segment_align: 8
    .kernarg_segment_size: 272
    .language:       OpenCL C
    .language_version:
      - 2
      - 0
    .max_flat_workgroup_size: 1024
    .name:           _Z18thread_scan_kernelIN6common11custom_typeImmLb1EEELi4EEvPT_S4_
    .private_segment_fixed_size: 0
    .sgpr_count:     18
    .sgpr_spill_count: 0
    .symbol:         _Z18thread_scan_kernelIN6common11custom_typeImmLb1EEELi4EEvPT_S4_.kd
    .uniform_work_group_size: 1
    .uses_dynamic_stack: false
    .vgpr_count:     12
    .vgpr_spill_count: 0
    .wavefront_size: 32
    .workgroup_processor_mode: 1
  - .args:
      - .address_space:  global
        .offset:         0
        .size:           8
        .value_kind:     global_buffer
      - .address_space:  global
        .offset:         8
        .size:           8
        .value_kind:     global_buffer
      - .offset:         16
        .size:           4
        .value_kind:     hidden_block_count_x
      - .offset:         20
        .size:           4
        .value_kind:     hidden_block_count_y
      - .offset:         24
        .size:           4
        .value_kind:     hidden_block_count_z
      - .offset:         28
        .size:           2
        .value_kind:     hidden_group_size_x
      - .offset:         30
        .size:           2
        .value_kind:     hidden_group_size_y
      - .offset:         32
        .size:           2
        .value_kind:     hidden_group_size_z
      - .offset:         34
        .size:           2
        .value_kind:     hidden_remainder_x
      - .offset:         36
        .size:           2
        .value_kind:     hidden_remainder_y
      - .offset:         38
        .size:           2
        .value_kind:     hidden_remainder_z
      - .offset:         56
        .size:           8
        .value_kind:     hidden_global_offset_x
      - .offset:         64
        .size:           8
        .value_kind:     hidden_global_offset_y
      - .offset:         72
        .size:           8
        .value_kind:     hidden_global_offset_z
      - .offset:         80
        .size:           2
        .value_kind:     hidden_grid_dims
    .group_segment_fixed_size: 0
    .kernarg_segment_align: 8
    .kernarg_segment_size: 272
    .language:       OpenCL C
    .language_version:
      - 2
      - 0
    .max_flat_workgroup_size: 1024
    .name:           _Z18thread_scan_kernelIdLi4EEvPT_S1_
    .private_segment_fixed_size: 0
    .sgpr_count:     18
    .sgpr_spill_count: 0
    .symbol:         _Z18thread_scan_kernelIdLi4EEvPT_S1_.kd
    .uniform_work_group_size: 1
    .uses_dynamic_stack: false
    .vgpr_count:     8
    .vgpr_spill_count: 0
    .wavefront_size: 32
    .workgroup_processor_mode: 1
  - .args:
      - .address_space:  global
        .offset:         0
        .size:           8
        .value_kind:     global_buffer
      - .address_space:  global
        .offset:         8
        .size:           8
        .value_kind:     global_buffer
      - .offset:         16
        .size:           4
        .value_kind:     hidden_block_count_x
      - .offset:         20
        .size:           4
        .value_kind:     hidden_block_count_y
      - .offset:         24
        .size:           4
        .value_kind:     hidden_block_count_z
      - .offset:         28
        .size:           2
        .value_kind:     hidden_group_size_x
      - .offset:         30
        .size:           2
        .value_kind:     hidden_group_size_y
      - .offset:         32
        .size:           2
        .value_kind:     hidden_group_size_z
      - .offset:         34
        .size:           2
        .value_kind:     hidden_remainder_x
      - .offset:         36
        .size:           2
        .value_kind:     hidden_remainder_y
      - .offset:         38
        .size:           2
        .value_kind:     hidden_remainder_z
      - .offset:         56
        .size:           8
        .value_kind:     hidden_global_offset_x
      - .offset:         64
        .size:           8
        .value_kind:     hidden_global_offset_y
      - .offset:         72
        .size:           8
        .value_kind:     hidden_global_offset_z
      - .offset:         80
        .size:           2
        .value_kind:     hidden_grid_dims
    .group_segment_fixed_size: 0
    .kernarg_segment_align: 8
    .kernarg_segment_size: 272
    .language:       OpenCL C
    .language_version:
      - 2
      - 0
    .max_flat_workgroup_size: 1024
    .name:           _Z18thread_scan_kernelIfLi4EEvPT_S1_
    .private_segment_fixed_size: 0
    .sgpr_count:     18
    .sgpr_spill_count: 0
    .symbol:         _Z18thread_scan_kernelIfLi4EEvPT_S1_.kd
    .uniform_work_group_size: 1
    .uses_dynamic_stack: false
    .vgpr_count:     6
    .vgpr_spill_count: 0
    .wavefront_size: 32
    .workgroup_processor_mode: 1
  - .args:
      - .address_space:  global
        .offset:         0
        .size:           8
        .value_kind:     global_buffer
      - .address_space:  global
        .offset:         8
        .size:           8
        .value_kind:     global_buffer
      - .offset:         16
        .size:           4
        .value_kind:     hidden_block_count_x
      - .offset:         20
        .size:           4
        .value_kind:     hidden_block_count_y
      - .offset:         24
        .size:           4
        .value_kind:     hidden_block_count_z
      - .offset:         28
        .size:           2
        .value_kind:     hidden_group_size_x
      - .offset:         30
        .size:           2
        .value_kind:     hidden_group_size_y
      - .offset:         32
        .size:           2
        .value_kind:     hidden_group_size_z
      - .offset:         34
        .size:           2
        .value_kind:     hidden_remainder_x
      - .offset:         36
        .size:           2
        .value_kind:     hidden_remainder_y
      - .offset:         38
        .size:           2
        .value_kind:     hidden_remainder_z
      - .offset:         56
        .size:           8
        .value_kind:     hidden_global_offset_x
      - .offset:         64
        .size:           8
        .value_kind:     hidden_global_offset_y
      - .offset:         72
        .size:           8
        .value_kind:     hidden_global_offset_z
      - .offset:         80
        .size:           2
        .value_kind:     hidden_grid_dims
    .group_segment_fixed_size: 0
    .kernarg_segment_align: 8
    .kernarg_segment_size: 272
    .language:       OpenCL C
    .language_version:
      - 2
      - 0
    .max_flat_workgroup_size: 1024
    .name:           _Z18thread_scan_kernelI12hip_bfloat16Li4EEvPT_S2_
    .private_segment_fixed_size: 0
    .sgpr_count:     18
    .sgpr_spill_count: 0
    .symbol:         _Z18thread_scan_kernelI12hip_bfloat16Li4EEvPT_S2_.kd
    .uniform_work_group_size: 1
    .uses_dynamic_stack: false
    .vgpr_count:     7
    .vgpr_spill_count: 0
    .wavefront_size: 32
    .workgroup_processor_mode: 1
  - .args:
      - .address_space:  global
        .offset:         0
        .size:           8
        .value_kind:     global_buffer
      - .address_space:  global
        .offset:         8
        .size:           8
        .value_kind:     global_buffer
      - .offset:         16
        .size:           4
        .value_kind:     hidden_block_count_x
      - .offset:         20
        .size:           4
        .value_kind:     hidden_block_count_y
      - .offset:         24
        .size:           4
        .value_kind:     hidden_block_count_z
      - .offset:         28
        .size:           2
        .value_kind:     hidden_group_size_x
      - .offset:         30
        .size:           2
        .value_kind:     hidden_group_size_y
      - .offset:         32
        .size:           2
        .value_kind:     hidden_group_size_z
      - .offset:         34
        .size:           2
        .value_kind:     hidden_remainder_x
      - .offset:         36
        .size:           2
        .value_kind:     hidden_remainder_y
      - .offset:         38
        .size:           2
        .value_kind:     hidden_remainder_z
      - .offset:         56
        .size:           8
        .value_kind:     hidden_global_offset_x
      - .offset:         64
        .size:           8
        .value_kind:     hidden_global_offset_y
      - .offset:         72
        .size:           8
        .value_kind:     hidden_global_offset_z
      - .offset:         80
        .size:           2
        .value_kind:     hidden_grid_dims
    .group_segment_fixed_size: 0
    .kernarg_segment_align: 8
    .kernarg_segment_size: 272
    .language:       OpenCL C
    .language_version:
      - 2
      - 0
    .max_flat_workgroup_size: 1024
    .name:           _Z18thread_scan_kernelI6__halfLi4EEvPT_S2_
    .private_segment_fixed_size: 0
    .sgpr_count:     18
    .sgpr_spill_count: 0
    .symbol:         _Z18thread_scan_kernelI6__halfLi4EEvPT_S2_.kd
    .uniform_work_group_size: 1
    .uses_dynamic_stack: false
    .vgpr_count:     6
    .vgpr_spill_count: 0
    .wavefront_size: 32
    .workgroup_processor_mode: 1
  - .args:
      - .address_space:  global
        .offset:         0
        .size:           8
        .value_kind:     global_buffer
      - .address_space:  global
        .offset:         8
        .size:           8
        .value_kind:     global_buffer
      - .offset:         16
        .size:           4
        .value_kind:     hidden_block_count_x
      - .offset:         20
        .size:           4
        .value_kind:     hidden_block_count_y
      - .offset:         24
        .size:           4
        .value_kind:     hidden_block_count_z
      - .offset:         28
        .size:           2
        .value_kind:     hidden_group_size_x
      - .offset:         30
        .size:           2
        .value_kind:     hidden_group_size_y
      - .offset:         32
        .size:           2
        .value_kind:     hidden_group_size_z
      - .offset:         34
        .size:           2
        .value_kind:     hidden_remainder_x
      - .offset:         36
        .size:           2
        .value_kind:     hidden_remainder_y
      - .offset:         38
        .size:           2
        .value_kind:     hidden_remainder_z
      - .offset:         56
        .size:           8
        .value_kind:     hidden_global_offset_x
      - .offset:         64
        .size:           8
        .value_kind:     hidden_global_offset_y
      - .offset:         72
        .size:           8
        .value_kind:     hidden_global_offset_z
      - .offset:         80
        .size:           2
        .value_kind:     hidden_grid_dims
    .group_segment_fixed_size: 0
    .kernarg_segment_align: 8
    .kernarg_segment_size: 272
    .language:       OpenCL C
    .language_version:
      - 2
      - 0
    .max_flat_workgroup_size: 1024
    .name:           _Z18thread_scan_kernelIiLi4EEvPT_S1_
    .private_segment_fixed_size: 0
    .sgpr_count:     18
    .sgpr_spill_count: 0
    .symbol:         _Z18thread_scan_kernelIiLi4EEvPT_S1_.kd
    .uniform_work_group_size: 1
    .uses_dynamic_stack: false
    .vgpr_count:     6
    .vgpr_spill_count: 0
    .wavefront_size: 32
    .workgroup_processor_mode: 1
  - .args:
      - .address_space:  global
        .offset:         0
        .size:           8
        .value_kind:     global_buffer
      - .address_space:  global
        .offset:         8
        .size:           8
        .value_kind:     global_buffer
      - .offset:         16
        .size:           4
        .value_kind:     hidden_block_count_x
      - .offset:         20
        .size:           4
        .value_kind:     hidden_block_count_y
      - .offset:         24
        .size:           4
        .value_kind:     hidden_block_count_z
      - .offset:         28
        .size:           2
        .value_kind:     hidden_group_size_x
      - .offset:         30
        .size:           2
        .value_kind:     hidden_group_size_y
      - .offset:         32
        .size:           2
        .value_kind:     hidden_group_size_z
      - .offset:         34
        .size:           2
        .value_kind:     hidden_remainder_x
      - .offset:         36
        .size:           2
        .value_kind:     hidden_remainder_y
      - .offset:         38
        .size:           2
        .value_kind:     hidden_remainder_z
      - .offset:         56
        .size:           8
        .value_kind:     hidden_global_offset_x
      - .offset:         64
        .size:           8
        .value_kind:     hidden_global_offset_y
      - .offset:         72
        .size:           8
        .value_kind:     hidden_global_offset_z
      - .offset:         80
        .size:           2
        .value_kind:     hidden_grid_dims
    .group_segment_fixed_size: 0
    .kernarg_segment_align: 8
    .kernarg_segment_size: 272
    .language:       OpenCL C
    .language_version:
      - 2
      - 0
    .max_flat_workgroup_size: 1024
    .name:           _Z18thread_scan_kernelImLi4EEvPT_S1_
    .private_segment_fixed_size: 0
    .sgpr_count:     18
    .sgpr_spill_count: 0
    .symbol:         _Z18thread_scan_kernelImLi4EEvPT_S1_.kd
    .uniform_work_group_size: 1
    .uses_dynamic_stack: false
    .vgpr_count:     8
    .vgpr_spill_count: 0
    .wavefront_size: 32
    .workgroup_processor_mode: 1
  - .args:
      - .address_space:  global
        .offset:         0
        .size:           8
        .value_kind:     global_buffer
      - .address_space:  global
        .offset:         8
        .size:           8
        .value_kind:     global_buffer
      - .offset:         16
        .size:           4
        .value_kind:     hidden_block_count_x
      - .offset:         20
        .size:           4
        .value_kind:     hidden_block_count_y
      - .offset:         24
        .size:           4
        .value_kind:     hidden_block_count_z
      - .offset:         28
        .size:           2
        .value_kind:     hidden_group_size_x
      - .offset:         30
        .size:           2
        .value_kind:     hidden_group_size_y
      - .offset:         32
        .size:           2
        .value_kind:     hidden_group_size_z
      - .offset:         34
        .size:           2
        .value_kind:     hidden_remainder_x
      - .offset:         36
        .size:           2
        .value_kind:     hidden_remainder_y
      - .offset:         38
        .size:           2
        .value_kind:     hidden_remainder_z
      - .offset:         56
        .size:           8
        .value_kind:     hidden_global_offset_x
      - .offset:         64
        .size:           8
        .value_kind:     hidden_global_offset_y
      - .offset:         72
        .size:           8
        .value_kind:     hidden_global_offset_z
      - .offset:         80
        .size:           2
        .value_kind:     hidden_grid_dims
    .group_segment_fixed_size: 0
    .kernarg_segment_align: 8
    .kernarg_segment_size: 272
    .language:       OpenCL C
    .language_version:
      - 2
      - 0
    .max_flat_workgroup_size: 1024
    .name:           _Z18thread_scan_kernelIjLi4EEvPT_S1_
    .private_segment_fixed_size: 0
    .sgpr_count:     18
    .sgpr_spill_count: 0
    .symbol:         _Z18thread_scan_kernelIjLi4EEvPT_S1_.kd
    .uniform_work_group_size: 1
    .uses_dynamic_stack: false
    .vgpr_count:     6
    .vgpr_spill_count: 0
    .wavefront_size: 32
    .workgroup_processor_mode: 1
  - .args:
      - .address_space:  global
        .offset:         0
        .size:           8
        .value_kind:     global_buffer
      - .address_space:  global
        .offset:         8
        .size:           8
        .value_kind:     global_buffer
      - .offset:         16
        .size:           4
        .value_kind:     hidden_block_count_x
      - .offset:         20
        .size:           4
        .value_kind:     hidden_block_count_y
      - .offset:         24
        .size:           4
        .value_kind:     hidden_block_count_z
      - .offset:         28
        .size:           2
        .value_kind:     hidden_group_size_x
      - .offset:         30
        .size:           2
        .value_kind:     hidden_group_size_y
      - .offset:         32
        .size:           2
        .value_kind:     hidden_group_size_z
      - .offset:         34
        .size:           2
        .value_kind:     hidden_remainder_x
      - .offset:         36
        .size:           2
        .value_kind:     hidden_remainder_y
      - .offset:         38
        .size:           2
        .value_kind:     hidden_remainder_z
      - .offset:         56
        .size:           8
        .value_kind:     hidden_global_offset_x
      - .offset:         64
        .size:           8
        .value_kind:     hidden_global_offset_y
      - .offset:         72
        .size:           8
        .value_kind:     hidden_global_offset_z
      - .offset:         80
        .size:           2
        .value_kind:     hidden_grid_dims
    .group_segment_fixed_size: 0
    .kernarg_segment_align: 8
    .kernarg_segment_size: 272
    .language:       OpenCL C
    .language_version:
      - 2
      - 0
    .max_flat_workgroup_size: 1024
    .name:           _Z18thread_scan_kernelItLi4EEvPT_S1_
    .private_segment_fixed_size: 0
    .sgpr_count:     18
    .sgpr_spill_count: 0
    .symbol:         _Z18thread_scan_kernelItLi4EEvPT_S1_.kd
    .uniform_work_group_size: 1
    .uses_dynamic_stack: false
    .vgpr_count:     6
    .vgpr_spill_count: 0
    .wavefront_size: 32
    .workgroup_processor_mode: 1
  - .args:
      - .address_space:  global
        .offset:         0
        .size:           8
        .value_kind:     global_buffer
      - .address_space:  global
        .offset:         8
        .size:           8
        .value_kind:     global_buffer
      - .offset:         16
        .size:           4
        .value_kind:     hidden_block_count_x
      - .offset:         20
        .size:           4
        .value_kind:     hidden_block_count_y
      - .offset:         24
        .size:           4
        .value_kind:     hidden_block_count_z
      - .offset:         28
        .size:           2
        .value_kind:     hidden_group_size_x
      - .offset:         30
        .size:           2
        .value_kind:     hidden_group_size_y
      - .offset:         32
        .size:           2
        .value_kind:     hidden_group_size_z
      - .offset:         34
        .size:           2
        .value_kind:     hidden_remainder_x
      - .offset:         36
        .size:           2
        .value_kind:     hidden_remainder_y
      - .offset:         38
        .size:           2
        .value_kind:     hidden_remainder_z
      - .offset:         56
        .size:           8
        .value_kind:     hidden_global_offset_x
      - .offset:         64
        .size:           8
        .value_kind:     hidden_global_offset_y
      - .offset:         72
        .size:           8
        .value_kind:     hidden_global_offset_z
      - .offset:         80
        .size:           2
        .value_kind:     hidden_grid_dims
    .group_segment_fixed_size: 0
    .kernarg_segment_align: 8
    .kernarg_segment_size: 272
    .language:       OpenCL C
    .language_version:
      - 2
      - 0
    .max_flat_workgroup_size: 1024
    .name:           _Z18thread_scan_kernelIhLi4EEvPT_S1_
    .private_segment_fixed_size: 0
    .sgpr_count:     16
    .sgpr_spill_count: 0
    .symbol:         _Z18thread_scan_kernelIhLi4EEvPT_S1_.kd
    .uniform_work_group_size: 1
    .uses_dynamic_stack: false
    .vgpr_count:     3
    .vgpr_spill_count: 0
    .wavefront_size: 32
    .workgroup_processor_mode: 1
  - .args:
      - .address_space:  global
        .offset:         0
        .size:           8
        .value_kind:     global_buffer
      - .address_space:  global
        .offset:         8
        .size:           8
        .value_kind:     global_buffer
      - .address_space:  global
        .offset:         16
        .size:           8
        .value_kind:     global_buffer
      - .address_space:  global
        .offset:         24
        .size:           8
        .value_kind:     global_buffer
      - .offset:         32
        .size:           4
        .value_kind:     by_value
      - .offset:         36
        .size:           4
        .value_kind:     by_value
      - .offset:         40
        .size:           1
        .value_kind:     by_value
      - .offset:         48
        .size:           4
        .value_kind:     hidden_block_count_x
      - .offset:         52
        .size:           4
        .value_kind:     hidden_block_count_y
      - .offset:         56
        .size:           4
        .value_kind:     hidden_block_count_z
      - .offset:         60
        .size:           2
        .value_kind:     hidden_group_size_x
      - .offset:         62
        .size:           2
        .value_kind:     hidden_group_size_y
      - .offset:         64
        .size:           2
        .value_kind:     hidden_group_size_z
      - .offset:         66
        .size:           2
        .value_kind:     hidden_remainder_x
      - .offset:         68
        .size:           2
        .value_kind:     hidden_remainder_y
      - .offset:         70
        .size:           2
        .value_kind:     hidden_remainder_z
      - .offset:         88
        .size:           8
        .value_kind:     hidden_global_offset_x
      - .offset:         96
        .size:           8
        .value_kind:     hidden_global_offset_y
      - .offset:         104
        .size:           8
        .value_kind:     hidden_global_offset_z
      - .offset:         112
        .size:           2
        .value_kind:     hidden_grid_dims
    .group_segment_fixed_size: 0
    .kernarg_segment_align: 8
    .kernarg_segment_size: 304
    .language:       OpenCL C
    .language_version:
      - 2
      - 0
    .max_flat_workgroup_size: 1024
    .name:           _Z20thread_search_kernelIojN7rocprim17ROCPRIM_304000_NS4lessIoEETnT0_Lj4EEvPT_S6_PS4_S7_S4_S4_T1_
    .private_segment_fixed_size: 0
    .sgpr_count:     18
    .sgpr_spill_count: 0
    .symbol:         _Z20thread_search_kernelIojN7rocprim17ROCPRIM_304000_NS4lessIoEETnT0_Lj4EEvPT_S6_PS4_S7_S4_S4_T1_.kd
    .uniform_work_group_size: 1
    .uses_dynamic_stack: false
    .vgpr_count:     14
    .vgpr_spill_count: 0
    .wavefront_size: 32
    .workgroup_processor_mode: 1
  - .args:
      - .address_space:  global
        .offset:         0
        .size:           8
        .value_kind:     global_buffer
      - .address_space:  global
        .offset:         8
        .size:           8
        .value_kind:     global_buffer
      - .address_space:  global
        .offset:         16
        .size:           8
        .value_kind:     global_buffer
      - .address_space:  global
        .offset:         24
        .size:           8
        .value_kind:     global_buffer
      - .offset:         32
        .size:           4
        .value_kind:     by_value
      - .offset:         36
        .size:           4
        .value_kind:     by_value
      - .offset:         40
        .size:           1
        .value_kind:     by_value
    .group_segment_fixed_size: 0
    .kernarg_segment_align: 8
    .kernarg_segment_size: 44
    .language:       OpenCL C
    .language_version:
      - 2
      - 0
    .max_flat_workgroup_size: 1024
    .name:           _Z34thread_search_out_of_bounds_kernelIojN7rocprim17ROCPRIM_304000_NS4lessIoEEEvPT_S5_PT0_S7_S6_S6_T1_
    .private_segment_fixed_size: 0
    .sgpr_count:     26
    .sgpr_spill_count: 0
    .symbol:         _Z34thread_search_out_of_bounds_kernelIojN7rocprim17ROCPRIM_304000_NS4lessIoEEEvPT_S5_PT0_S7_S6_S6_T1_.kd
    .uniform_work_group_size: 1
    .uses_dynamic_stack: false
    .vgpr_count:     3
    .vgpr_spill_count: 0
    .wavefront_size: 32
    .workgroup_processor_mode: 1
  - .args:
      - .address_space:  global
        .offset:         0
        .size:           8
        .value_kind:     global_buffer
      - .address_space:  global
        .offset:         8
        .size:           8
        .value_kind:     global_buffer
      - .address_space:  global
        .offset:         16
        .size:           8
        .value_kind:     global_buffer
      - .address_space:  global
        .offset:         24
        .size:           8
        .value_kind:     global_buffer
      - .offset:         32
        .size:           4
        .value_kind:     by_value
      - .offset:         36
        .size:           4
        .value_kind:     by_value
      - .offset:         40
        .size:           1
        .value_kind:     by_value
      - .offset:         48
        .size:           4
        .value_kind:     hidden_block_count_x
      - .offset:         52
        .size:           4
        .value_kind:     hidden_block_count_y
      - .offset:         56
        .size:           4
        .value_kind:     hidden_block_count_z
      - .offset:         60
        .size:           2
        .value_kind:     hidden_group_size_x
      - .offset:         62
        .size:           2
        .value_kind:     hidden_group_size_y
      - .offset:         64
        .size:           2
        .value_kind:     hidden_group_size_z
      - .offset:         66
        .size:           2
        .value_kind:     hidden_remainder_x
      - .offset:         68
        .size:           2
        .value_kind:     hidden_remainder_y
      - .offset:         70
        .size:           2
        .value_kind:     hidden_remainder_z
      - .offset:         88
        .size:           8
        .value_kind:     hidden_global_offset_x
      - .offset:         96
        .size:           8
        .value_kind:     hidden_global_offset_y
      - .offset:         104
        .size:           8
        .value_kind:     hidden_global_offset_z
      - .offset:         112
        .size:           2
        .value_kind:     hidden_grid_dims
    .group_segment_fixed_size: 0
    .kernarg_segment_align: 8
    .kernarg_segment_size: 304
    .language:       OpenCL C
    .language_version:
      - 2
      - 0
    .max_flat_workgroup_size: 1024
    .name:           _Z20thread_search_kernelIojN7rocprim17ROCPRIM_304000_NS7greaterIoEETnT0_Lj4EEvPT_S6_PS4_S7_S4_S4_T1_
    .private_segment_fixed_size: 0
    .sgpr_count:     18
    .sgpr_spill_count: 0
    .symbol:         _Z20thread_search_kernelIojN7rocprim17ROCPRIM_304000_NS7greaterIoEETnT0_Lj4EEvPT_S6_PS4_S7_S4_S4_T1_.kd
    .uniform_work_group_size: 1
    .uses_dynamic_stack: false
    .vgpr_count:     14
    .vgpr_spill_count: 0
    .wavefront_size: 32
    .workgroup_processor_mode: 1
  - .args:
      - .address_space:  global
        .offset:         0
        .size:           8
        .value_kind:     global_buffer
      - .address_space:  global
        .offset:         8
        .size:           8
        .value_kind:     global_buffer
      - .address_space:  global
        .offset:         16
        .size:           8
        .value_kind:     global_buffer
      - .address_space:  global
        .offset:         24
        .size:           8
        .value_kind:     global_buffer
      - .offset:         32
        .size:           4
        .value_kind:     by_value
      - .offset:         36
        .size:           4
        .value_kind:     by_value
      - .offset:         40
        .size:           1
        .value_kind:     by_value
    .group_segment_fixed_size: 0
    .kernarg_segment_align: 8
    .kernarg_segment_size: 44
    .language:       OpenCL C
    .language_version:
      - 2
      - 0
    .max_flat_workgroup_size: 1024
    .name:           _Z34thread_search_out_of_bounds_kernelIojN7rocprim17ROCPRIM_304000_NS7greaterIoEEEvPT_S5_PT0_S7_S6_S6_T1_
    .private_segment_fixed_size: 0
    .sgpr_count:     26
    .sgpr_spill_count: 0
    .symbol:         _Z34thread_search_out_of_bounds_kernelIojN7rocprim17ROCPRIM_304000_NS7greaterIoEEEvPT_S5_PT0_S7_S6_S6_T1_.kd
    .uniform_work_group_size: 1
    .uses_dynamic_stack: false
    .vgpr_count:     3
    .vgpr_spill_count: 0
    .wavefront_size: 32
    .workgroup_processor_mode: 1
  - .args:
      - .address_space:  global
        .offset:         0
        .size:           8
        .value_kind:     global_buffer
      - .address_space:  global
        .offset:         8
        .size:           8
        .value_kind:     global_buffer
      - .address_space:  global
        .offset:         16
        .size:           8
        .value_kind:     global_buffer
      - .address_space:  global
        .offset:         24
        .size:           8
        .value_kind:     global_buffer
      - .offset:         32
        .size:           4
        .value_kind:     by_value
      - .offset:         36
        .size:           4
        .value_kind:     by_value
      - .offset:         40
        .size:           1
        .value_kind:     by_value
      - .offset:         48
        .size:           4
        .value_kind:     hidden_block_count_x
      - .offset:         52
        .size:           4
        .value_kind:     hidden_block_count_y
      - .offset:         56
        .size:           4
        .value_kind:     hidden_block_count_z
      - .offset:         60
        .size:           2
        .value_kind:     hidden_group_size_x
      - .offset:         62
        .size:           2
        .value_kind:     hidden_group_size_y
      - .offset:         64
        .size:           2
        .value_kind:     hidden_group_size_z
      - .offset:         66
        .size:           2
        .value_kind:     hidden_remainder_x
      - .offset:         68
        .size:           2
        .value_kind:     hidden_remainder_y
      - .offset:         70
        .size:           2
        .value_kind:     hidden_remainder_z
      - .offset:         88
        .size:           8
        .value_kind:     hidden_global_offset_x
      - .offset:         96
        .size:           8
        .value_kind:     hidden_global_offset_y
      - .offset:         104
        .size:           8
        .value_kind:     hidden_global_offset_z
      - .offset:         112
        .size:           2
        .value_kind:     hidden_grid_dims
    .group_segment_fixed_size: 0
    .kernarg_segment_align: 8
    .kernarg_segment_size: 304
    .language:       OpenCL C
    .language_version:
      - 2
      - 0
    .max_flat_workgroup_size: 1024
    .name:           _Z20thread_search_kernelIN6common11custom_typeIddLb1EEEjN7rocprim17ROCPRIM_304000_NS4lessIS2_EETnT0_Lj4EEvPT_S9_PS7_SA_S7_S7_T1_
    .private_segment_fixed_size: 0
    .sgpr_count:     18
    .sgpr_spill_count: 0
    .symbol:         _Z20thread_search_kernelIN6common11custom_typeIddLb1EEEjN7rocprim17ROCPRIM_304000_NS4lessIS2_EETnT0_Lj4EEvPT_S9_PS7_SA_S7_S7_T1_.kd
    .uniform_work_group_size: 1
    .uses_dynamic_stack: false
    .vgpr_count:     14
    .vgpr_spill_count: 0
    .wavefront_size: 32
    .workgroup_processor_mode: 1
  - .args:
      - .address_space:  global
        .offset:         0
        .size:           8
        .value_kind:     global_buffer
      - .address_space:  global
        .offset:         8
        .size:           8
        .value_kind:     global_buffer
      - .address_space:  global
        .offset:         16
        .size:           8
        .value_kind:     global_buffer
      - .address_space:  global
        .offset:         24
        .size:           8
        .value_kind:     global_buffer
      - .offset:         32
        .size:           4
        .value_kind:     by_value
      - .offset:         36
        .size:           4
        .value_kind:     by_value
      - .offset:         40
        .size:           1
        .value_kind:     by_value
    .group_segment_fixed_size: 0
    .kernarg_segment_align: 8
    .kernarg_segment_size: 44
    .language:       OpenCL C
    .language_version:
      - 2
      - 0
    .max_flat_workgroup_size: 1024
    .name:           _Z34thread_search_out_of_bounds_kernelIN6common11custom_typeIddLb1EEEjN7rocprim17ROCPRIM_304000_NS4lessIS2_EEEvPT_S8_PT0_SA_S9_S9_T1_
    .private_segment_fixed_size: 0
    .sgpr_count:     26
    .sgpr_spill_count: 0
    .symbol:         _Z34thread_search_out_of_bounds_kernelIN6common11custom_typeIddLb1EEEjN7rocprim17ROCPRIM_304000_NS4lessIS2_EEEvPT_S8_PT0_SA_S9_S9_T1_.kd
    .uniform_work_group_size: 1
    .uses_dynamic_stack: false
    .vgpr_count:     3
    .vgpr_spill_count: 0
    .wavefront_size: 32
    .workgroup_processor_mode: 1
  - .args:
      - .address_space:  global
        .offset:         0
        .size:           8
        .value_kind:     global_buffer
      - .address_space:  global
        .offset:         8
        .size:           8
        .value_kind:     global_buffer
      - .address_space:  global
        .offset:         16
        .size:           8
        .value_kind:     global_buffer
      - .address_space:  global
        .offset:         24
        .size:           8
        .value_kind:     global_buffer
      - .offset:         32
        .size:           4
        .value_kind:     by_value
      - .offset:         36
        .size:           4
        .value_kind:     by_value
      - .offset:         40
        .size:           1
        .value_kind:     by_value
      - .offset:         48
        .size:           4
        .value_kind:     hidden_block_count_x
      - .offset:         52
        .size:           4
        .value_kind:     hidden_block_count_y
      - .offset:         56
        .size:           4
        .value_kind:     hidden_block_count_z
      - .offset:         60
        .size:           2
        .value_kind:     hidden_group_size_x
      - .offset:         62
        .size:           2
        .value_kind:     hidden_group_size_y
      - .offset:         64
        .size:           2
        .value_kind:     hidden_group_size_z
      - .offset:         66
        .size:           2
        .value_kind:     hidden_remainder_x
      - .offset:         68
        .size:           2
        .value_kind:     hidden_remainder_y
      - .offset:         70
        .size:           2
        .value_kind:     hidden_remainder_z
      - .offset:         88
        .size:           8
        .value_kind:     hidden_global_offset_x
      - .offset:         96
        .size:           8
        .value_kind:     hidden_global_offset_y
      - .offset:         104
        .size:           8
        .value_kind:     hidden_global_offset_z
      - .offset:         112
        .size:           2
        .value_kind:     hidden_grid_dims
    .group_segment_fixed_size: 0
    .kernarg_segment_align: 8
    .kernarg_segment_size: 304
    .language:       OpenCL C
    .language_version:
      - 2
      - 0
    .max_flat_workgroup_size: 1024
    .name:           _Z20thread_search_kernelIN6common11custom_typeIddLb1EEEjN7rocprim17ROCPRIM_304000_NS7greaterIS2_EETnT0_Lj4EEvPT_S9_PS7_SA_S7_S7_T1_
    .private_segment_fixed_size: 0
    .sgpr_count:     18
    .sgpr_spill_count: 0
    .symbol:         _Z20thread_search_kernelIN6common11custom_typeIddLb1EEEjN7rocprim17ROCPRIM_304000_NS7greaterIS2_EETnT0_Lj4EEvPT_S9_PS7_SA_S7_S7_T1_.kd
    .uniform_work_group_size: 1
    .uses_dynamic_stack: false
    .vgpr_count:     14
    .vgpr_spill_count: 0
    .wavefront_size: 32
    .workgroup_processor_mode: 1
  - .args:
      - .address_space:  global
        .offset:         0
        .size:           8
        .value_kind:     global_buffer
      - .address_space:  global
        .offset:         8
        .size:           8
        .value_kind:     global_buffer
      - .address_space:  global
        .offset:         16
        .size:           8
        .value_kind:     global_buffer
      - .address_space:  global
        .offset:         24
        .size:           8
        .value_kind:     global_buffer
      - .offset:         32
        .size:           4
        .value_kind:     by_value
      - .offset:         36
        .size:           4
        .value_kind:     by_value
      - .offset:         40
        .size:           1
        .value_kind:     by_value
    .group_segment_fixed_size: 0
    .kernarg_segment_align: 8
    .kernarg_segment_size: 44
    .language:       OpenCL C
    .language_version:
      - 2
      - 0
    .max_flat_workgroup_size: 1024
    .name:           _Z34thread_search_out_of_bounds_kernelIN6common11custom_typeIddLb1EEEjN7rocprim17ROCPRIM_304000_NS7greaterIS2_EEEvPT_S8_PT0_SA_S9_S9_T1_
    .private_segment_fixed_size: 0
    .sgpr_count:     26
    .sgpr_spill_count: 0
    .symbol:         _Z34thread_search_out_of_bounds_kernelIN6common11custom_typeIddLb1EEEjN7rocprim17ROCPRIM_304000_NS7greaterIS2_EEEvPT_S8_PT0_SA_S9_S9_T1_.kd
    .uniform_work_group_size: 1
    .uses_dynamic_stack: false
    .vgpr_count:     3
    .vgpr_spill_count: 0
    .wavefront_size: 32
    .workgroup_processor_mode: 1
  - .args:
      - .address_space:  global
        .offset:         0
        .size:           8
        .value_kind:     global_buffer
      - .address_space:  global
        .offset:         8
        .size:           8
        .value_kind:     global_buffer
      - .address_space:  global
        .offset:         16
        .size:           8
        .value_kind:     global_buffer
      - .address_space:  global
        .offset:         24
        .size:           8
        .value_kind:     global_buffer
      - .offset:         32
        .size:           4
        .value_kind:     by_value
      - .offset:         36
        .size:           4
        .value_kind:     by_value
      - .offset:         40
        .size:           1
        .value_kind:     by_value
      - .offset:         48
        .size:           4
        .value_kind:     hidden_block_count_x
      - .offset:         52
        .size:           4
        .value_kind:     hidden_block_count_y
      - .offset:         56
        .size:           4
        .value_kind:     hidden_block_count_z
      - .offset:         60
        .size:           2
        .value_kind:     hidden_group_size_x
      - .offset:         62
        .size:           2
        .value_kind:     hidden_group_size_y
      - .offset:         64
        .size:           2
        .value_kind:     hidden_group_size_z
      - .offset:         66
        .size:           2
        .value_kind:     hidden_remainder_x
      - .offset:         68
        .size:           2
        .value_kind:     hidden_remainder_y
      - .offset:         70
        .size:           2
        .value_kind:     hidden_remainder_z
      - .offset:         88
        .size:           8
        .value_kind:     hidden_global_offset_x
      - .offset:         96
        .size:           8
        .value_kind:     hidden_global_offset_y
      - .offset:         104
        .size:           8
        .value_kind:     hidden_global_offset_z
      - .offset:         112
        .size:           2
        .value_kind:     hidden_grid_dims
    .group_segment_fixed_size: 0
    .kernarg_segment_align: 8
    .kernarg_segment_size: 304
    .language:       OpenCL C
    .language_version:
      - 2
      - 0
    .max_flat_workgroup_size: 1024
    .name:           _Z20thread_search_kernelIN6common11custom_typeImmLb1EEEjN7rocprim17ROCPRIM_304000_NS4lessIS2_EETnT0_Lj4EEvPT_S9_PS7_SA_S7_S7_T1_
    .private_segment_fixed_size: 0
    .sgpr_count:     18
    .sgpr_spill_count: 0
    .symbol:         _Z20thread_search_kernelIN6common11custom_typeImmLb1EEEjN7rocprim17ROCPRIM_304000_NS4lessIS2_EETnT0_Lj4EEvPT_S9_PS7_SA_S7_S7_T1_.kd
    .uniform_work_group_size: 1
    .uses_dynamic_stack: false
    .vgpr_count:     14
    .vgpr_spill_count: 0
    .wavefront_size: 32
    .workgroup_processor_mode: 1
  - .args:
      - .address_space:  global
        .offset:         0
        .size:           8
        .value_kind:     global_buffer
      - .address_space:  global
        .offset:         8
        .size:           8
        .value_kind:     global_buffer
      - .address_space:  global
        .offset:         16
        .size:           8
        .value_kind:     global_buffer
      - .address_space:  global
        .offset:         24
        .size:           8
        .value_kind:     global_buffer
      - .offset:         32
        .size:           4
        .value_kind:     by_value
      - .offset:         36
        .size:           4
        .value_kind:     by_value
      - .offset:         40
        .size:           1
        .value_kind:     by_value
    .group_segment_fixed_size: 0
    .kernarg_segment_align: 8
    .kernarg_segment_size: 44
    .language:       OpenCL C
    .language_version:
      - 2
      - 0
    .max_flat_workgroup_size: 1024
    .name:           _Z34thread_search_out_of_bounds_kernelIN6common11custom_typeImmLb1EEEjN7rocprim17ROCPRIM_304000_NS4lessIS2_EEEvPT_S8_PT0_SA_S9_S9_T1_
    .private_segment_fixed_size: 0
    .sgpr_count:     26
    .sgpr_spill_count: 0
    .symbol:         _Z34thread_search_out_of_bounds_kernelIN6common11custom_typeImmLb1EEEjN7rocprim17ROCPRIM_304000_NS4lessIS2_EEEvPT_S8_PT0_SA_S9_S9_T1_.kd
    .uniform_work_group_size: 1
    .uses_dynamic_stack: false
    .vgpr_count:     3
    .vgpr_spill_count: 0
    .wavefront_size: 32
    .workgroup_processor_mode: 1
  - .args:
      - .address_space:  global
        .offset:         0
        .size:           8
        .value_kind:     global_buffer
      - .address_space:  global
        .offset:         8
        .size:           8
        .value_kind:     global_buffer
      - .address_space:  global
        .offset:         16
        .size:           8
        .value_kind:     global_buffer
      - .address_space:  global
        .offset:         24
        .size:           8
        .value_kind:     global_buffer
      - .offset:         32
        .size:           4
        .value_kind:     by_value
      - .offset:         36
        .size:           4
        .value_kind:     by_value
      - .offset:         40
        .size:           1
        .value_kind:     by_value
      - .offset:         48
        .size:           4
        .value_kind:     hidden_block_count_x
      - .offset:         52
        .size:           4
        .value_kind:     hidden_block_count_y
      - .offset:         56
        .size:           4
        .value_kind:     hidden_block_count_z
      - .offset:         60
        .size:           2
        .value_kind:     hidden_group_size_x
      - .offset:         62
        .size:           2
        .value_kind:     hidden_group_size_y
      - .offset:         64
        .size:           2
        .value_kind:     hidden_group_size_z
      - .offset:         66
        .size:           2
        .value_kind:     hidden_remainder_x
      - .offset:         68
        .size:           2
        .value_kind:     hidden_remainder_y
      - .offset:         70
        .size:           2
        .value_kind:     hidden_remainder_z
      - .offset:         88
        .size:           8
        .value_kind:     hidden_global_offset_x
      - .offset:         96
        .size:           8
        .value_kind:     hidden_global_offset_y
      - .offset:         104
        .size:           8
        .value_kind:     hidden_global_offset_z
      - .offset:         112
        .size:           2
        .value_kind:     hidden_grid_dims
    .group_segment_fixed_size: 0
    .kernarg_segment_align: 8
    .kernarg_segment_size: 304
    .language:       OpenCL C
    .language_version:
      - 2
      - 0
    .max_flat_workgroup_size: 1024
    .name:           _Z20thread_search_kernelIN6common11custom_typeImmLb1EEEjN7rocprim17ROCPRIM_304000_NS7greaterIS2_EETnT0_Lj4EEvPT_S9_PS7_SA_S7_S7_T1_
    .private_segment_fixed_size: 0
    .sgpr_count:     18
    .sgpr_spill_count: 0
    .symbol:         _Z20thread_search_kernelIN6common11custom_typeImmLb1EEEjN7rocprim17ROCPRIM_304000_NS7greaterIS2_EETnT0_Lj4EEvPT_S9_PS7_SA_S7_S7_T1_.kd
    .uniform_work_group_size: 1
    .uses_dynamic_stack: false
    .vgpr_count:     14
    .vgpr_spill_count: 0
    .wavefront_size: 32
    .workgroup_processor_mode: 1
  - .args:
      - .address_space:  global
        .offset:         0
        .size:           8
        .value_kind:     global_buffer
      - .address_space:  global
        .offset:         8
        .size:           8
        .value_kind:     global_buffer
      - .address_space:  global
        .offset:         16
        .size:           8
        .value_kind:     global_buffer
      - .address_space:  global
        .offset:         24
        .size:           8
        .value_kind:     global_buffer
      - .offset:         32
        .size:           4
        .value_kind:     by_value
      - .offset:         36
        .size:           4
        .value_kind:     by_value
      - .offset:         40
        .size:           1
        .value_kind:     by_value
    .group_segment_fixed_size: 0
    .kernarg_segment_align: 8
    .kernarg_segment_size: 44
    .language:       OpenCL C
    .language_version:
      - 2
      - 0
    .max_flat_workgroup_size: 1024
    .name:           _Z34thread_search_out_of_bounds_kernelIN6common11custom_typeImmLb1EEEjN7rocprim17ROCPRIM_304000_NS7greaterIS2_EEEvPT_S8_PT0_SA_S9_S9_T1_
    .private_segment_fixed_size: 0
    .sgpr_count:     26
    .sgpr_spill_count: 0
    .symbol:         _Z34thread_search_out_of_bounds_kernelIN6common11custom_typeImmLb1EEEjN7rocprim17ROCPRIM_304000_NS7greaterIS2_EEEvPT_S8_PT0_SA_S9_S9_T1_.kd
    .uniform_work_group_size: 1
    .uses_dynamic_stack: false
    .vgpr_count:     3
    .vgpr_spill_count: 0
    .wavefront_size: 32
    .workgroup_processor_mode: 1
  - .args:
      - .address_space:  global
        .offset:         0
        .size:           8
        .value_kind:     global_buffer
      - .address_space:  global
        .offset:         8
        .size:           8
        .value_kind:     global_buffer
      - .address_space:  global
        .offset:         16
        .size:           8
        .value_kind:     global_buffer
      - .address_space:  global
        .offset:         24
        .size:           8
        .value_kind:     global_buffer
      - .offset:         32
        .size:           4
        .value_kind:     by_value
      - .offset:         36
        .size:           4
        .value_kind:     by_value
      - .offset:         40
        .size:           1
        .value_kind:     by_value
      - .offset:         48
        .size:           4
        .value_kind:     hidden_block_count_x
      - .offset:         52
        .size:           4
        .value_kind:     hidden_block_count_y
      - .offset:         56
        .size:           4
        .value_kind:     hidden_block_count_z
      - .offset:         60
        .size:           2
        .value_kind:     hidden_group_size_x
      - .offset:         62
        .size:           2
        .value_kind:     hidden_group_size_y
      - .offset:         64
        .size:           2
        .value_kind:     hidden_group_size_z
      - .offset:         66
        .size:           2
        .value_kind:     hidden_remainder_x
      - .offset:         68
        .size:           2
        .value_kind:     hidden_remainder_y
      - .offset:         70
        .size:           2
        .value_kind:     hidden_remainder_z
      - .offset:         88
        .size:           8
        .value_kind:     hidden_global_offset_x
      - .offset:         96
        .size:           8
        .value_kind:     hidden_global_offset_y
      - .offset:         104
        .size:           8
        .value_kind:     hidden_global_offset_z
      - .offset:         112
        .size:           2
        .value_kind:     hidden_grid_dims
    .group_segment_fixed_size: 0
    .kernarg_segment_align: 8
    .kernarg_segment_size: 304
    .language:       OpenCL C
    .language_version:
      - 2
      - 0
    .max_flat_workgroup_size: 1024
    .name:           _Z20thread_search_kernelIdjN7rocprim17ROCPRIM_304000_NS4lessIdEETnT0_Lj4EEvPT_S6_PS4_S7_S4_S4_T1_
    .private_segment_fixed_size: 0
    .sgpr_count:     18
    .sgpr_spill_count: 0
    .symbol:         _Z20thread_search_kernelIdjN7rocprim17ROCPRIM_304000_NS4lessIdEETnT0_Lj4EEvPT_S6_PS4_S7_S4_S4_T1_.kd
    .uniform_work_group_size: 1
    .uses_dynamic_stack: false
    .vgpr_count:     10
    .vgpr_spill_count: 0
    .wavefront_size: 32
    .workgroup_processor_mode: 1
  - .args:
      - .address_space:  global
        .offset:         0
        .size:           8
        .value_kind:     global_buffer
      - .address_space:  global
        .offset:         8
        .size:           8
        .value_kind:     global_buffer
      - .address_space:  global
        .offset:         16
        .size:           8
        .value_kind:     global_buffer
      - .address_space:  global
        .offset:         24
        .size:           8
        .value_kind:     global_buffer
      - .offset:         32
        .size:           4
        .value_kind:     by_value
      - .offset:         36
        .size:           4
        .value_kind:     by_value
      - .offset:         40
        .size:           1
        .value_kind:     by_value
    .group_segment_fixed_size: 0
    .kernarg_segment_align: 8
    .kernarg_segment_size: 44
    .language:       OpenCL C
    .language_version:
      - 2
      - 0
    .max_flat_workgroup_size: 1024
    .name:           _Z34thread_search_out_of_bounds_kernelIdjN7rocprim17ROCPRIM_304000_NS4lessIdEEEvPT_S5_PT0_S7_S6_S6_T1_
    .private_segment_fixed_size: 0
    .sgpr_count:     22
    .sgpr_spill_count: 0
    .symbol:         _Z34thread_search_out_of_bounds_kernelIdjN7rocprim17ROCPRIM_304000_NS4lessIdEEEvPT_S5_PT0_S7_S6_S6_T1_.kd
    .uniform_work_group_size: 1
    .uses_dynamic_stack: false
    .vgpr_count:     3
    .vgpr_spill_count: 0
    .wavefront_size: 32
    .workgroup_processor_mode: 1
  - .args:
      - .address_space:  global
        .offset:         0
        .size:           8
        .value_kind:     global_buffer
      - .address_space:  global
        .offset:         8
        .size:           8
        .value_kind:     global_buffer
      - .address_space:  global
        .offset:         16
        .size:           8
        .value_kind:     global_buffer
      - .address_space:  global
        .offset:         24
        .size:           8
        .value_kind:     global_buffer
      - .offset:         32
        .size:           4
        .value_kind:     by_value
      - .offset:         36
        .size:           4
        .value_kind:     by_value
      - .offset:         40
        .size:           1
        .value_kind:     by_value
      - .offset:         48
        .size:           4
        .value_kind:     hidden_block_count_x
      - .offset:         52
        .size:           4
        .value_kind:     hidden_block_count_y
      - .offset:         56
        .size:           4
        .value_kind:     hidden_block_count_z
      - .offset:         60
        .size:           2
        .value_kind:     hidden_group_size_x
      - .offset:         62
        .size:           2
        .value_kind:     hidden_group_size_y
      - .offset:         64
        .size:           2
        .value_kind:     hidden_group_size_z
      - .offset:         66
        .size:           2
        .value_kind:     hidden_remainder_x
      - .offset:         68
        .size:           2
        .value_kind:     hidden_remainder_y
      - .offset:         70
        .size:           2
        .value_kind:     hidden_remainder_z
      - .offset:         88
        .size:           8
        .value_kind:     hidden_global_offset_x
      - .offset:         96
        .size:           8
        .value_kind:     hidden_global_offset_y
      - .offset:         104
        .size:           8
        .value_kind:     hidden_global_offset_z
      - .offset:         112
        .size:           2
        .value_kind:     hidden_grid_dims
    .group_segment_fixed_size: 0
    .kernarg_segment_align: 8
    .kernarg_segment_size: 304
    .language:       OpenCL C
    .language_version:
      - 2
      - 0
    .max_flat_workgroup_size: 1024
    .name:           _Z20thread_search_kernelIdjN7rocprim17ROCPRIM_304000_NS7greaterIdEETnT0_Lj4EEvPT_S6_PS4_S7_S4_S4_T1_
    .private_segment_fixed_size: 0
    .sgpr_count:     18
    .sgpr_spill_count: 0
    .symbol:         _Z20thread_search_kernelIdjN7rocprim17ROCPRIM_304000_NS7greaterIdEETnT0_Lj4EEvPT_S6_PS4_S7_S4_S4_T1_.kd
    .uniform_work_group_size: 1
    .uses_dynamic_stack: false
    .vgpr_count:     10
    .vgpr_spill_count: 0
    .wavefront_size: 32
    .workgroup_processor_mode: 1
  - .args:
      - .address_space:  global
        .offset:         0
        .size:           8
        .value_kind:     global_buffer
      - .address_space:  global
        .offset:         8
        .size:           8
        .value_kind:     global_buffer
      - .address_space:  global
        .offset:         16
        .size:           8
        .value_kind:     global_buffer
      - .address_space:  global
        .offset:         24
        .size:           8
        .value_kind:     global_buffer
      - .offset:         32
        .size:           4
        .value_kind:     by_value
      - .offset:         36
        .size:           4
        .value_kind:     by_value
      - .offset:         40
        .size:           1
        .value_kind:     by_value
    .group_segment_fixed_size: 0
    .kernarg_segment_align: 8
    .kernarg_segment_size: 44
    .language:       OpenCL C
    .language_version:
      - 2
      - 0
    .max_flat_workgroup_size: 1024
    .name:           _Z34thread_search_out_of_bounds_kernelIdjN7rocprim17ROCPRIM_304000_NS7greaterIdEEEvPT_S5_PT0_S7_S6_S6_T1_
    .private_segment_fixed_size: 0
    .sgpr_count:     22
    .sgpr_spill_count: 0
    .symbol:         _Z34thread_search_out_of_bounds_kernelIdjN7rocprim17ROCPRIM_304000_NS7greaterIdEEEvPT_S5_PT0_S7_S6_S6_T1_.kd
    .uniform_work_group_size: 1
    .uses_dynamic_stack: false
    .vgpr_count:     3
    .vgpr_spill_count: 0
    .wavefront_size: 32
    .workgroup_processor_mode: 1
  - .args:
      - .address_space:  global
        .offset:         0
        .size:           8
        .value_kind:     global_buffer
      - .address_space:  global
        .offset:         8
        .size:           8
        .value_kind:     global_buffer
      - .address_space:  global
        .offset:         16
        .size:           8
        .value_kind:     global_buffer
      - .address_space:  global
        .offset:         24
        .size:           8
        .value_kind:     global_buffer
      - .offset:         32
        .size:           4
        .value_kind:     by_value
      - .offset:         36
        .size:           4
        .value_kind:     by_value
      - .offset:         40
        .size:           1
        .value_kind:     by_value
      - .offset:         48
        .size:           4
        .value_kind:     hidden_block_count_x
      - .offset:         52
        .size:           4
        .value_kind:     hidden_block_count_y
      - .offset:         56
        .size:           4
        .value_kind:     hidden_block_count_z
      - .offset:         60
        .size:           2
        .value_kind:     hidden_group_size_x
      - .offset:         62
        .size:           2
        .value_kind:     hidden_group_size_y
      - .offset:         64
        .size:           2
        .value_kind:     hidden_group_size_z
      - .offset:         66
        .size:           2
        .value_kind:     hidden_remainder_x
      - .offset:         68
        .size:           2
        .value_kind:     hidden_remainder_y
      - .offset:         70
        .size:           2
        .value_kind:     hidden_remainder_z
      - .offset:         88
        .size:           8
        .value_kind:     hidden_global_offset_x
      - .offset:         96
        .size:           8
        .value_kind:     hidden_global_offset_y
      - .offset:         104
        .size:           8
        .value_kind:     hidden_global_offset_z
      - .offset:         112
        .size:           2
        .value_kind:     hidden_grid_dims
    .group_segment_fixed_size: 0
    .kernarg_segment_align: 8
    .kernarg_segment_size: 304
    .language:       OpenCL C
    .language_version:
      - 2
      - 0
    .max_flat_workgroup_size: 1024
    .name:           _Z20thread_search_kernelIfjN7rocprim17ROCPRIM_304000_NS4lessIfEETnT0_Lj4EEvPT_S6_PS4_S7_S4_S4_T1_
    .private_segment_fixed_size: 0
    .sgpr_count:     18
    .sgpr_spill_count: 0
    .symbol:         _Z20thread_search_kernelIfjN7rocprim17ROCPRIM_304000_NS4lessIfEETnT0_Lj4EEvPT_S6_PS4_S7_S4_S4_T1_.kd
    .uniform_work_group_size: 1
    .uses_dynamic_stack: false
    .vgpr_count:     10
    .vgpr_spill_count: 0
    .wavefront_size: 32
    .workgroup_processor_mode: 1
  - .args:
      - .address_space:  global
        .offset:         0
        .size:           8
        .value_kind:     global_buffer
      - .address_space:  global
        .offset:         8
        .size:           8
        .value_kind:     global_buffer
      - .address_space:  global
        .offset:         16
        .size:           8
        .value_kind:     global_buffer
      - .address_space:  global
        .offset:         24
        .size:           8
        .value_kind:     global_buffer
      - .offset:         32
        .size:           4
        .value_kind:     by_value
      - .offset:         36
        .size:           4
        .value_kind:     by_value
      - .offset:         40
        .size:           1
        .value_kind:     by_value
    .group_segment_fixed_size: 0
    .kernarg_segment_align: 8
    .kernarg_segment_size: 44
    .language:       OpenCL C
    .language_version:
      - 2
      - 0
    .max_flat_workgroup_size: 1024
    .name:           _Z34thread_search_out_of_bounds_kernelIfjN7rocprim17ROCPRIM_304000_NS4lessIfEEEvPT_S5_PT0_S7_S6_S6_T1_
    .private_segment_fixed_size: 0
    .sgpr_count:     22
    .sgpr_spill_count: 0
    .symbol:         _Z34thread_search_out_of_bounds_kernelIfjN7rocprim17ROCPRIM_304000_NS4lessIfEEEvPT_S5_PT0_S7_S6_S6_T1_.kd
    .uniform_work_group_size: 1
    .uses_dynamic_stack: false
    .vgpr_count:     3
    .vgpr_spill_count: 0
    .wavefront_size: 32
    .workgroup_processor_mode: 1
  - .args:
      - .address_space:  global
        .offset:         0
        .size:           8
        .value_kind:     global_buffer
      - .address_space:  global
        .offset:         8
        .size:           8
        .value_kind:     global_buffer
      - .address_space:  global
        .offset:         16
        .size:           8
        .value_kind:     global_buffer
      - .address_space:  global
        .offset:         24
        .size:           8
        .value_kind:     global_buffer
      - .offset:         32
        .size:           4
        .value_kind:     by_value
      - .offset:         36
        .size:           4
        .value_kind:     by_value
      - .offset:         40
        .size:           1
        .value_kind:     by_value
      - .offset:         48
        .size:           4
        .value_kind:     hidden_block_count_x
      - .offset:         52
        .size:           4
        .value_kind:     hidden_block_count_y
      - .offset:         56
        .size:           4
        .value_kind:     hidden_block_count_z
      - .offset:         60
        .size:           2
        .value_kind:     hidden_group_size_x
      - .offset:         62
        .size:           2
        .value_kind:     hidden_group_size_y
      - .offset:         64
        .size:           2
        .value_kind:     hidden_group_size_z
      - .offset:         66
        .size:           2
        .value_kind:     hidden_remainder_x
      - .offset:         68
        .size:           2
        .value_kind:     hidden_remainder_y
      - .offset:         70
        .size:           2
        .value_kind:     hidden_remainder_z
      - .offset:         88
        .size:           8
        .value_kind:     hidden_global_offset_x
      - .offset:         96
        .size:           8
        .value_kind:     hidden_global_offset_y
      - .offset:         104
        .size:           8
        .value_kind:     hidden_global_offset_z
      - .offset:         112
        .size:           2
        .value_kind:     hidden_grid_dims
    .group_segment_fixed_size: 0
    .kernarg_segment_align: 8
    .kernarg_segment_size: 304
    .language:       OpenCL C
    .language_version:
      - 2
      - 0
    .max_flat_workgroup_size: 1024
    .name:           _Z20thread_search_kernelIfjN7rocprim17ROCPRIM_304000_NS7greaterIfEETnT0_Lj4EEvPT_S6_PS4_S7_S4_S4_T1_
    .private_segment_fixed_size: 0
    .sgpr_count:     18
    .sgpr_spill_count: 0
    .symbol:         _Z20thread_search_kernelIfjN7rocprim17ROCPRIM_304000_NS7greaterIfEETnT0_Lj4EEvPT_S6_PS4_S7_S4_S4_T1_.kd
    .uniform_work_group_size: 1
    .uses_dynamic_stack: false
    .vgpr_count:     10
    .vgpr_spill_count: 0
    .wavefront_size: 32
    .workgroup_processor_mode: 1
  - .args:
      - .address_space:  global
        .offset:         0
        .size:           8
        .value_kind:     global_buffer
      - .address_space:  global
        .offset:         8
        .size:           8
        .value_kind:     global_buffer
      - .address_space:  global
        .offset:         16
        .size:           8
        .value_kind:     global_buffer
      - .address_space:  global
        .offset:         24
        .size:           8
        .value_kind:     global_buffer
      - .offset:         32
        .size:           4
        .value_kind:     by_value
      - .offset:         36
        .size:           4
        .value_kind:     by_value
      - .offset:         40
        .size:           1
        .value_kind:     by_value
    .group_segment_fixed_size: 0
    .kernarg_segment_align: 8
    .kernarg_segment_size: 44
    .language:       OpenCL C
    .language_version:
      - 2
      - 0
    .max_flat_workgroup_size: 1024
    .name:           _Z34thread_search_out_of_bounds_kernelIfjN7rocprim17ROCPRIM_304000_NS7greaterIfEEEvPT_S5_PT0_S7_S6_S6_T1_
    .private_segment_fixed_size: 0
    .sgpr_count:     22
    .sgpr_spill_count: 0
    .symbol:         _Z34thread_search_out_of_bounds_kernelIfjN7rocprim17ROCPRIM_304000_NS7greaterIfEEEvPT_S5_PT0_S7_S6_S6_T1_.kd
    .uniform_work_group_size: 1
    .uses_dynamic_stack: false
    .vgpr_count:     3
    .vgpr_spill_count: 0
    .wavefront_size: 32
    .workgroup_processor_mode: 1
  - .args:
      - .address_space:  global
        .offset:         0
        .size:           8
        .value_kind:     global_buffer
      - .address_space:  global
        .offset:         8
        .size:           8
        .value_kind:     global_buffer
      - .address_space:  global
        .offset:         16
        .size:           8
        .value_kind:     global_buffer
      - .address_space:  global
        .offset:         24
        .size:           8
        .value_kind:     global_buffer
      - .offset:         32
        .size:           4
        .value_kind:     by_value
      - .offset:         36
        .size:           4
        .value_kind:     by_value
      - .offset:         40
        .size:           1
        .value_kind:     by_value
      - .offset:         48
        .size:           4
        .value_kind:     hidden_block_count_x
      - .offset:         52
        .size:           4
        .value_kind:     hidden_block_count_y
      - .offset:         56
        .size:           4
        .value_kind:     hidden_block_count_z
      - .offset:         60
        .size:           2
        .value_kind:     hidden_group_size_x
      - .offset:         62
        .size:           2
        .value_kind:     hidden_group_size_y
      - .offset:         64
        .size:           2
        .value_kind:     hidden_group_size_z
      - .offset:         66
        .size:           2
        .value_kind:     hidden_remainder_x
      - .offset:         68
        .size:           2
        .value_kind:     hidden_remainder_y
      - .offset:         70
        .size:           2
        .value_kind:     hidden_remainder_z
      - .offset:         88
        .size:           8
        .value_kind:     hidden_global_offset_x
      - .offset:         96
        .size:           8
        .value_kind:     hidden_global_offset_y
      - .offset:         104
        .size:           8
        .value_kind:     hidden_global_offset_z
      - .offset:         112
        .size:           2
        .value_kind:     hidden_grid_dims
    .group_segment_fixed_size: 0
    .kernarg_segment_align: 8
    .kernarg_segment_size: 304
    .language:       OpenCL C
    .language_version:
      - 2
      - 0
    .max_flat_workgroup_size: 1024
    .name:           _Z20thread_search_kernelI12hip_bfloat16jN7rocprim17ROCPRIM_304000_NS4lessIS0_EETnT0_Lj4EEvPT_S7_PS5_S8_S5_S5_T1_
    .private_segment_fixed_size: 0
    .sgpr_count:     18
    .sgpr_spill_count: 0
    .symbol:         _Z20thread_search_kernelI12hip_bfloat16jN7rocprim17ROCPRIM_304000_NS4lessIS0_EETnT0_Lj4EEvPT_S7_PS5_S8_S5_S5_T1_.kd
    .uniform_work_group_size: 1
    .uses_dynamic_stack: false
    .vgpr_count:     10
    .vgpr_spill_count: 0
    .wavefront_size: 32
    .workgroup_processor_mode: 1
  - .args:
      - .address_space:  global
        .offset:         0
        .size:           8
        .value_kind:     global_buffer
      - .address_space:  global
        .offset:         8
        .size:           8
        .value_kind:     global_buffer
      - .address_space:  global
        .offset:         16
        .size:           8
        .value_kind:     global_buffer
      - .address_space:  global
        .offset:         24
        .size:           8
        .value_kind:     global_buffer
      - .offset:         32
        .size:           4
        .value_kind:     by_value
      - .offset:         36
        .size:           4
        .value_kind:     by_value
      - .offset:         40
        .size:           1
        .value_kind:     by_value
    .group_segment_fixed_size: 0
    .kernarg_segment_align: 8
    .kernarg_segment_size: 44
    .language:       OpenCL C
    .language_version:
      - 2
      - 0
    .max_flat_workgroup_size: 1024
    .name:           _Z34thread_search_out_of_bounds_kernelI12hip_bfloat16jN7rocprim17ROCPRIM_304000_NS4lessIS0_EEEvPT_S6_PT0_S8_S7_S7_T1_
    .private_segment_fixed_size: 0
    .sgpr_count:     20
    .sgpr_spill_count: 0
    .symbol:         _Z34thread_search_out_of_bounds_kernelI12hip_bfloat16jN7rocprim17ROCPRIM_304000_NS4lessIS0_EEEvPT_S6_PT0_S8_S7_S7_T1_.kd
    .uniform_work_group_size: 1
    .uses_dynamic_stack: false
    .vgpr_count:     3
    .vgpr_spill_count: 0
    .wavefront_size: 32
    .workgroup_processor_mode: 1
  - .args:
      - .address_space:  global
        .offset:         0
        .size:           8
        .value_kind:     global_buffer
      - .address_space:  global
        .offset:         8
        .size:           8
        .value_kind:     global_buffer
      - .address_space:  global
        .offset:         16
        .size:           8
        .value_kind:     global_buffer
      - .address_space:  global
        .offset:         24
        .size:           8
        .value_kind:     global_buffer
      - .offset:         32
        .size:           4
        .value_kind:     by_value
      - .offset:         36
        .size:           4
        .value_kind:     by_value
      - .offset:         40
        .size:           1
        .value_kind:     by_value
      - .offset:         48
        .size:           4
        .value_kind:     hidden_block_count_x
      - .offset:         52
        .size:           4
        .value_kind:     hidden_block_count_y
      - .offset:         56
        .size:           4
        .value_kind:     hidden_block_count_z
      - .offset:         60
        .size:           2
        .value_kind:     hidden_group_size_x
      - .offset:         62
        .size:           2
        .value_kind:     hidden_group_size_y
      - .offset:         64
        .size:           2
        .value_kind:     hidden_group_size_z
      - .offset:         66
        .size:           2
        .value_kind:     hidden_remainder_x
      - .offset:         68
        .size:           2
        .value_kind:     hidden_remainder_y
      - .offset:         70
        .size:           2
        .value_kind:     hidden_remainder_z
      - .offset:         88
        .size:           8
        .value_kind:     hidden_global_offset_x
      - .offset:         96
        .size:           8
        .value_kind:     hidden_global_offset_y
      - .offset:         104
        .size:           8
        .value_kind:     hidden_global_offset_z
      - .offset:         112
        .size:           2
        .value_kind:     hidden_grid_dims
    .group_segment_fixed_size: 0
    .kernarg_segment_align: 8
    .kernarg_segment_size: 304
    .language:       OpenCL C
    .language_version:
      - 2
      - 0
    .max_flat_workgroup_size: 1024
    .name:           _Z20thread_search_kernelI12hip_bfloat16jN7rocprim17ROCPRIM_304000_NS7greaterIS0_EETnT0_Lj4EEvPT_S7_PS5_S8_S5_S5_T1_
    .private_segment_fixed_size: 0
    .sgpr_count:     18
    .sgpr_spill_count: 0
    .symbol:         _Z20thread_search_kernelI12hip_bfloat16jN7rocprim17ROCPRIM_304000_NS7greaterIS0_EETnT0_Lj4EEvPT_S7_PS5_S8_S5_S5_T1_.kd
    .uniform_work_group_size: 1
    .uses_dynamic_stack: false
    .vgpr_count:     10
    .vgpr_spill_count: 0
    .wavefront_size: 32
    .workgroup_processor_mode: 1
  - .args:
      - .address_space:  global
        .offset:         0
        .size:           8
        .value_kind:     global_buffer
      - .address_space:  global
        .offset:         8
        .size:           8
        .value_kind:     global_buffer
      - .address_space:  global
        .offset:         16
        .size:           8
        .value_kind:     global_buffer
      - .address_space:  global
        .offset:         24
        .size:           8
        .value_kind:     global_buffer
      - .offset:         32
        .size:           4
        .value_kind:     by_value
      - .offset:         36
        .size:           4
        .value_kind:     by_value
      - .offset:         40
        .size:           1
        .value_kind:     by_value
    .group_segment_fixed_size: 0
    .kernarg_segment_align: 8
    .kernarg_segment_size: 44
    .language:       OpenCL C
    .language_version:
      - 2
      - 0
    .max_flat_workgroup_size: 1024
    .name:           _Z34thread_search_out_of_bounds_kernelI12hip_bfloat16jN7rocprim17ROCPRIM_304000_NS7greaterIS0_EEEvPT_S6_PT0_S8_S7_S7_T1_
    .private_segment_fixed_size: 0
    .sgpr_count:     20
    .sgpr_spill_count: 0
    .symbol:         _Z34thread_search_out_of_bounds_kernelI12hip_bfloat16jN7rocprim17ROCPRIM_304000_NS7greaterIS0_EEEvPT_S6_PT0_S8_S7_S7_T1_.kd
    .uniform_work_group_size: 1
    .uses_dynamic_stack: false
    .vgpr_count:     3
    .vgpr_spill_count: 0
    .wavefront_size: 32
    .workgroup_processor_mode: 1
  - .args:
      - .address_space:  global
        .offset:         0
        .size:           8
        .value_kind:     global_buffer
      - .address_space:  global
        .offset:         8
        .size:           8
        .value_kind:     global_buffer
      - .address_space:  global
        .offset:         16
        .size:           8
        .value_kind:     global_buffer
      - .address_space:  global
        .offset:         24
        .size:           8
        .value_kind:     global_buffer
      - .offset:         32
        .size:           4
        .value_kind:     by_value
      - .offset:         36
        .size:           4
        .value_kind:     by_value
      - .offset:         40
        .size:           1
        .value_kind:     by_value
      - .offset:         48
        .size:           4
        .value_kind:     hidden_block_count_x
      - .offset:         52
        .size:           4
        .value_kind:     hidden_block_count_y
      - .offset:         56
        .size:           4
        .value_kind:     hidden_block_count_z
      - .offset:         60
        .size:           2
        .value_kind:     hidden_group_size_x
      - .offset:         62
        .size:           2
        .value_kind:     hidden_group_size_y
      - .offset:         64
        .size:           2
        .value_kind:     hidden_group_size_z
      - .offset:         66
        .size:           2
        .value_kind:     hidden_remainder_x
      - .offset:         68
        .size:           2
        .value_kind:     hidden_remainder_y
      - .offset:         70
        .size:           2
        .value_kind:     hidden_remainder_z
      - .offset:         88
        .size:           8
        .value_kind:     hidden_global_offset_x
      - .offset:         96
        .size:           8
        .value_kind:     hidden_global_offset_y
      - .offset:         104
        .size:           8
        .value_kind:     hidden_global_offset_z
      - .offset:         112
        .size:           2
        .value_kind:     hidden_grid_dims
    .group_segment_fixed_size: 0
    .kernarg_segment_align: 8
    .kernarg_segment_size: 304
    .language:       OpenCL C
    .language_version:
      - 2
      - 0
    .max_flat_workgroup_size: 1024
    .name:           _Z20thread_search_kernelI6__halfjN7rocprim17ROCPRIM_304000_NS4lessIS0_EETnT0_Lj4EEvPT_S7_PS5_S8_S5_S5_T1_
    .private_segment_fixed_size: 0
    .sgpr_count:     18
    .sgpr_spill_count: 0
    .symbol:         _Z20thread_search_kernelI6__halfjN7rocprim17ROCPRIM_304000_NS4lessIS0_EETnT0_Lj4EEvPT_S7_PS5_S8_S5_S5_T1_.kd
    .uniform_work_group_size: 1
    .uses_dynamic_stack: false
    .vgpr_count:     10
    .vgpr_spill_count: 0
    .wavefront_size: 32
    .workgroup_processor_mode: 1
  - .args:
      - .address_space:  global
        .offset:         0
        .size:           8
        .value_kind:     global_buffer
      - .address_space:  global
        .offset:         8
        .size:           8
        .value_kind:     global_buffer
      - .address_space:  global
        .offset:         16
        .size:           8
        .value_kind:     global_buffer
      - .address_space:  global
        .offset:         24
        .size:           8
        .value_kind:     global_buffer
      - .offset:         32
        .size:           4
        .value_kind:     by_value
      - .offset:         36
        .size:           4
        .value_kind:     by_value
      - .offset:         40
        .size:           1
        .value_kind:     by_value
    .group_segment_fixed_size: 0
    .kernarg_segment_align: 8
    .kernarg_segment_size: 44
    .language:       OpenCL C
    .language_version:
      - 2
      - 0
    .max_flat_workgroup_size: 1024
    .name:           _Z34thread_search_out_of_bounds_kernelI6__halfjN7rocprim17ROCPRIM_304000_NS4lessIS0_EEEvPT_S6_PT0_S8_S7_S7_T1_
    .private_segment_fixed_size: 0
    .sgpr_count:     20
    .sgpr_spill_count: 0
    .symbol:         _Z34thread_search_out_of_bounds_kernelI6__halfjN7rocprim17ROCPRIM_304000_NS4lessIS0_EEEvPT_S6_PT0_S8_S7_S7_T1_.kd
    .uniform_work_group_size: 1
    .uses_dynamic_stack: false
    .vgpr_count:     3
    .vgpr_spill_count: 0
    .wavefront_size: 32
    .workgroup_processor_mode: 1
  - .args:
      - .address_space:  global
        .offset:         0
        .size:           8
        .value_kind:     global_buffer
      - .address_space:  global
        .offset:         8
        .size:           8
        .value_kind:     global_buffer
      - .address_space:  global
        .offset:         16
        .size:           8
        .value_kind:     global_buffer
      - .address_space:  global
        .offset:         24
        .size:           8
        .value_kind:     global_buffer
      - .offset:         32
        .size:           4
        .value_kind:     by_value
      - .offset:         36
        .size:           4
        .value_kind:     by_value
      - .offset:         40
        .size:           1
        .value_kind:     by_value
      - .offset:         48
        .size:           4
        .value_kind:     hidden_block_count_x
      - .offset:         52
        .size:           4
        .value_kind:     hidden_block_count_y
      - .offset:         56
        .size:           4
        .value_kind:     hidden_block_count_z
      - .offset:         60
        .size:           2
        .value_kind:     hidden_group_size_x
      - .offset:         62
        .size:           2
        .value_kind:     hidden_group_size_y
      - .offset:         64
        .size:           2
        .value_kind:     hidden_group_size_z
      - .offset:         66
        .size:           2
        .value_kind:     hidden_remainder_x
      - .offset:         68
        .size:           2
        .value_kind:     hidden_remainder_y
      - .offset:         70
        .size:           2
        .value_kind:     hidden_remainder_z
      - .offset:         88
        .size:           8
        .value_kind:     hidden_global_offset_x
      - .offset:         96
        .size:           8
        .value_kind:     hidden_global_offset_y
      - .offset:         104
        .size:           8
        .value_kind:     hidden_global_offset_z
      - .offset:         112
        .size:           2
        .value_kind:     hidden_grid_dims
    .group_segment_fixed_size: 0
    .kernarg_segment_align: 8
    .kernarg_segment_size: 304
    .language:       OpenCL C
    .language_version:
      - 2
      - 0
    .max_flat_workgroup_size: 1024
    .name:           _Z20thread_search_kernelI6__halfjN7rocprim17ROCPRIM_304000_NS7greaterIS0_EETnT0_Lj4EEvPT_S7_PS5_S8_S5_S5_T1_
    .private_segment_fixed_size: 0
    .sgpr_count:     18
    .sgpr_spill_count: 0
    .symbol:         _Z20thread_search_kernelI6__halfjN7rocprim17ROCPRIM_304000_NS7greaterIS0_EETnT0_Lj4EEvPT_S7_PS5_S8_S5_S5_T1_.kd
    .uniform_work_group_size: 1
    .uses_dynamic_stack: false
    .vgpr_count:     10
    .vgpr_spill_count: 0
    .wavefront_size: 32
    .workgroup_processor_mode: 1
  - .args:
      - .address_space:  global
        .offset:         0
        .size:           8
        .value_kind:     global_buffer
      - .address_space:  global
        .offset:         8
        .size:           8
        .value_kind:     global_buffer
      - .address_space:  global
        .offset:         16
        .size:           8
        .value_kind:     global_buffer
      - .address_space:  global
        .offset:         24
        .size:           8
        .value_kind:     global_buffer
      - .offset:         32
        .size:           4
        .value_kind:     by_value
      - .offset:         36
        .size:           4
        .value_kind:     by_value
      - .offset:         40
        .size:           1
        .value_kind:     by_value
    .group_segment_fixed_size: 0
    .kernarg_segment_align: 8
    .kernarg_segment_size: 44
    .language:       OpenCL C
    .language_version:
      - 2
      - 0
    .max_flat_workgroup_size: 1024
    .name:           _Z34thread_search_out_of_bounds_kernelI6__halfjN7rocprim17ROCPRIM_304000_NS7greaterIS0_EEEvPT_S6_PT0_S8_S7_S7_T1_
    .private_segment_fixed_size: 0
    .sgpr_count:     20
    .sgpr_spill_count: 0
    .symbol:         _Z34thread_search_out_of_bounds_kernelI6__halfjN7rocprim17ROCPRIM_304000_NS7greaterIS0_EEEvPT_S6_PT0_S8_S7_S7_T1_.kd
    .uniform_work_group_size: 1
    .uses_dynamic_stack: false
    .vgpr_count:     3
    .vgpr_spill_count: 0
    .wavefront_size: 32
    .workgroup_processor_mode: 1
  - .args:
      - .address_space:  global
        .offset:         0
        .size:           8
        .value_kind:     global_buffer
      - .address_space:  global
        .offset:         8
        .size:           8
        .value_kind:     global_buffer
      - .address_space:  global
        .offset:         16
        .size:           8
        .value_kind:     global_buffer
      - .address_space:  global
        .offset:         24
        .size:           8
        .value_kind:     global_buffer
      - .offset:         32
        .size:           4
        .value_kind:     by_value
      - .offset:         36
        .size:           4
        .value_kind:     by_value
      - .offset:         40
        .size:           1
        .value_kind:     by_value
      - .offset:         48
        .size:           4
        .value_kind:     hidden_block_count_x
      - .offset:         52
        .size:           4
        .value_kind:     hidden_block_count_y
      - .offset:         56
        .size:           4
        .value_kind:     hidden_block_count_z
      - .offset:         60
        .size:           2
        .value_kind:     hidden_group_size_x
      - .offset:         62
        .size:           2
        .value_kind:     hidden_group_size_y
      - .offset:         64
        .size:           2
        .value_kind:     hidden_group_size_z
      - .offset:         66
        .size:           2
        .value_kind:     hidden_remainder_x
      - .offset:         68
        .size:           2
        .value_kind:     hidden_remainder_y
      - .offset:         70
        .size:           2
        .value_kind:     hidden_remainder_z
      - .offset:         88
        .size:           8
        .value_kind:     hidden_global_offset_x
      - .offset:         96
        .size:           8
        .value_kind:     hidden_global_offset_y
      - .offset:         104
        .size:           8
        .value_kind:     hidden_global_offset_z
      - .offset:         112
        .size:           2
        .value_kind:     hidden_grid_dims
    .group_segment_fixed_size: 0
    .kernarg_segment_align: 8
    .kernarg_segment_size: 304
    .language:       OpenCL C
    .language_version:
      - 2
      - 0
    .max_flat_workgroup_size: 1024
    .name:           _Z20thread_search_kernelIijN7rocprim17ROCPRIM_304000_NS4lessIiEETnT0_Lj4EEvPT_S6_PS4_S7_S4_S4_T1_
    .private_segment_fixed_size: 0
    .sgpr_count:     18
    .sgpr_spill_count: 0
    .symbol:         _Z20thread_search_kernelIijN7rocprim17ROCPRIM_304000_NS4lessIiEETnT0_Lj4EEvPT_S6_PS4_S7_S4_S4_T1_.kd
    .uniform_work_group_size: 1
    .uses_dynamic_stack: false
    .vgpr_count:     10
    .vgpr_spill_count: 0
    .wavefront_size: 32
    .workgroup_processor_mode: 1
  - .args:
      - .address_space:  global
        .offset:         0
        .size:           8
        .value_kind:     global_buffer
      - .address_space:  global
        .offset:         8
        .size:           8
        .value_kind:     global_buffer
      - .address_space:  global
        .offset:         16
        .size:           8
        .value_kind:     global_buffer
      - .address_space:  global
        .offset:         24
        .size:           8
        .value_kind:     global_buffer
      - .offset:         32
        .size:           4
        .value_kind:     by_value
      - .offset:         36
        .size:           4
        .value_kind:     by_value
      - .offset:         40
        .size:           1
        .value_kind:     by_value
    .group_segment_fixed_size: 0
    .kernarg_segment_align: 8
    .kernarg_segment_size: 44
    .language:       OpenCL C
    .language_version:
      - 2
      - 0
    .max_flat_workgroup_size: 1024
    .name:           _Z34thread_search_out_of_bounds_kernelIijN7rocprim17ROCPRIM_304000_NS4lessIiEEEvPT_S5_PT0_S7_S6_S6_T1_
    .private_segment_fixed_size: 0
    .sgpr_count:     22
    .sgpr_spill_count: 0
    .symbol:         _Z34thread_search_out_of_bounds_kernelIijN7rocprim17ROCPRIM_304000_NS4lessIiEEEvPT_S5_PT0_S7_S6_S6_T1_.kd
    .uniform_work_group_size: 1
    .uses_dynamic_stack: false
    .vgpr_count:     3
    .vgpr_spill_count: 0
    .wavefront_size: 32
    .workgroup_processor_mode: 1
  - .args:
      - .address_space:  global
        .offset:         0
        .size:           8
        .value_kind:     global_buffer
      - .address_space:  global
        .offset:         8
        .size:           8
        .value_kind:     global_buffer
      - .address_space:  global
        .offset:         16
        .size:           8
        .value_kind:     global_buffer
      - .address_space:  global
        .offset:         24
        .size:           8
        .value_kind:     global_buffer
      - .offset:         32
        .size:           4
        .value_kind:     by_value
      - .offset:         36
        .size:           4
        .value_kind:     by_value
      - .offset:         40
        .size:           1
        .value_kind:     by_value
      - .offset:         48
        .size:           4
        .value_kind:     hidden_block_count_x
      - .offset:         52
        .size:           4
        .value_kind:     hidden_block_count_y
      - .offset:         56
        .size:           4
        .value_kind:     hidden_block_count_z
      - .offset:         60
        .size:           2
        .value_kind:     hidden_group_size_x
      - .offset:         62
        .size:           2
        .value_kind:     hidden_group_size_y
      - .offset:         64
        .size:           2
        .value_kind:     hidden_group_size_z
      - .offset:         66
        .size:           2
        .value_kind:     hidden_remainder_x
      - .offset:         68
        .size:           2
        .value_kind:     hidden_remainder_y
      - .offset:         70
        .size:           2
        .value_kind:     hidden_remainder_z
      - .offset:         88
        .size:           8
        .value_kind:     hidden_global_offset_x
      - .offset:         96
        .size:           8
        .value_kind:     hidden_global_offset_y
      - .offset:         104
        .size:           8
        .value_kind:     hidden_global_offset_z
      - .offset:         112
        .size:           2
        .value_kind:     hidden_grid_dims
    .group_segment_fixed_size: 0
    .kernarg_segment_align: 8
    .kernarg_segment_size: 304
    .language:       OpenCL C
    .language_version:
      - 2
      - 0
    .max_flat_workgroup_size: 1024
    .name:           _Z20thread_search_kernelIijN7rocprim17ROCPRIM_304000_NS7greaterIiEETnT0_Lj4EEvPT_S6_PS4_S7_S4_S4_T1_
    .private_segment_fixed_size: 0
    .sgpr_count:     18
    .sgpr_spill_count: 0
    .symbol:         _Z20thread_search_kernelIijN7rocprim17ROCPRIM_304000_NS7greaterIiEETnT0_Lj4EEvPT_S6_PS4_S7_S4_S4_T1_.kd
    .uniform_work_group_size: 1
    .uses_dynamic_stack: false
    .vgpr_count:     10
    .vgpr_spill_count: 0
    .wavefront_size: 32
    .workgroup_processor_mode: 1
  - .args:
      - .address_space:  global
        .offset:         0
        .size:           8
        .value_kind:     global_buffer
      - .address_space:  global
        .offset:         8
        .size:           8
        .value_kind:     global_buffer
      - .address_space:  global
        .offset:         16
        .size:           8
        .value_kind:     global_buffer
      - .address_space:  global
        .offset:         24
        .size:           8
        .value_kind:     global_buffer
      - .offset:         32
        .size:           4
        .value_kind:     by_value
      - .offset:         36
        .size:           4
        .value_kind:     by_value
      - .offset:         40
        .size:           1
        .value_kind:     by_value
    .group_segment_fixed_size: 0
    .kernarg_segment_align: 8
    .kernarg_segment_size: 44
    .language:       OpenCL C
    .language_version:
      - 2
      - 0
    .max_flat_workgroup_size: 1024
    .name:           _Z34thread_search_out_of_bounds_kernelIijN7rocprim17ROCPRIM_304000_NS7greaterIiEEEvPT_S5_PT0_S7_S6_S6_T1_
    .private_segment_fixed_size: 0
    .sgpr_count:     22
    .sgpr_spill_count: 0
    .symbol:         _Z34thread_search_out_of_bounds_kernelIijN7rocprim17ROCPRIM_304000_NS7greaterIiEEEvPT_S5_PT0_S7_S6_S6_T1_.kd
    .uniform_work_group_size: 1
    .uses_dynamic_stack: false
    .vgpr_count:     3
    .vgpr_spill_count: 0
    .wavefront_size: 32
    .workgroup_processor_mode: 1
  - .args:
      - .address_space:  global
        .offset:         0
        .size:           8
        .value_kind:     global_buffer
      - .address_space:  global
        .offset:         8
        .size:           8
        .value_kind:     global_buffer
      - .address_space:  global
        .offset:         16
        .size:           8
        .value_kind:     global_buffer
      - .address_space:  global
        .offset:         24
        .size:           8
        .value_kind:     global_buffer
      - .offset:         32
        .size:           4
        .value_kind:     by_value
      - .offset:         36
        .size:           4
        .value_kind:     by_value
      - .offset:         40
        .size:           1
        .value_kind:     by_value
      - .offset:         48
        .size:           4
        .value_kind:     hidden_block_count_x
      - .offset:         52
        .size:           4
        .value_kind:     hidden_block_count_y
      - .offset:         56
        .size:           4
        .value_kind:     hidden_block_count_z
      - .offset:         60
        .size:           2
        .value_kind:     hidden_group_size_x
      - .offset:         62
        .size:           2
        .value_kind:     hidden_group_size_y
      - .offset:         64
        .size:           2
        .value_kind:     hidden_group_size_z
      - .offset:         66
        .size:           2
        .value_kind:     hidden_remainder_x
      - .offset:         68
        .size:           2
        .value_kind:     hidden_remainder_y
      - .offset:         70
        .size:           2
        .value_kind:     hidden_remainder_z
      - .offset:         88
        .size:           8
        .value_kind:     hidden_global_offset_x
      - .offset:         96
        .size:           8
        .value_kind:     hidden_global_offset_y
      - .offset:         104
        .size:           8
        .value_kind:     hidden_global_offset_z
      - .offset:         112
        .size:           2
        .value_kind:     hidden_grid_dims
    .group_segment_fixed_size: 0
    .kernarg_segment_align: 8
    .kernarg_segment_size: 304
    .language:       OpenCL C
    .language_version:
      - 2
      - 0
    .max_flat_workgroup_size: 1024
    .name:           _Z20thread_search_kernelImjN7rocprim17ROCPRIM_304000_NS4lessImEETnT0_Lj4EEvPT_S6_PS4_S7_S4_S4_T1_
    .private_segment_fixed_size: 0
    .sgpr_count:     18
    .sgpr_spill_count: 0
    .symbol:         _Z20thread_search_kernelImjN7rocprim17ROCPRIM_304000_NS4lessImEETnT0_Lj4EEvPT_S6_PS4_S7_S4_S4_T1_.kd
    .uniform_work_group_size: 1
    .uses_dynamic_stack: false
    .vgpr_count:     10
    .vgpr_spill_count: 0
    .wavefront_size: 32
    .workgroup_processor_mode: 1
  - .args:
      - .address_space:  global
        .offset:         0
        .size:           8
        .value_kind:     global_buffer
      - .address_space:  global
        .offset:         8
        .size:           8
        .value_kind:     global_buffer
      - .address_space:  global
        .offset:         16
        .size:           8
        .value_kind:     global_buffer
      - .address_space:  global
        .offset:         24
        .size:           8
        .value_kind:     global_buffer
      - .offset:         32
        .size:           4
        .value_kind:     by_value
      - .offset:         36
        .size:           4
        .value_kind:     by_value
      - .offset:         40
        .size:           1
        .value_kind:     by_value
    .group_segment_fixed_size: 0
    .kernarg_segment_align: 8
    .kernarg_segment_size: 44
    .language:       OpenCL C
    .language_version:
      - 2
      - 0
    .max_flat_workgroup_size: 1024
    .name:           _Z34thread_search_out_of_bounds_kernelImjN7rocprim17ROCPRIM_304000_NS4lessImEEEvPT_S5_PT0_S7_S6_S6_T1_
    .private_segment_fixed_size: 0
    .sgpr_count:     22
    .sgpr_spill_count: 0
    .symbol:         _Z34thread_search_out_of_bounds_kernelImjN7rocprim17ROCPRIM_304000_NS4lessImEEEvPT_S5_PT0_S7_S6_S6_T1_.kd
    .uniform_work_group_size: 1
    .uses_dynamic_stack: false
    .vgpr_count:     3
    .vgpr_spill_count: 0
    .wavefront_size: 32
    .workgroup_processor_mode: 1
  - .args:
      - .address_space:  global
        .offset:         0
        .size:           8
        .value_kind:     global_buffer
      - .address_space:  global
        .offset:         8
        .size:           8
        .value_kind:     global_buffer
      - .address_space:  global
        .offset:         16
        .size:           8
        .value_kind:     global_buffer
      - .address_space:  global
        .offset:         24
        .size:           8
        .value_kind:     global_buffer
      - .offset:         32
        .size:           4
        .value_kind:     by_value
      - .offset:         36
        .size:           4
        .value_kind:     by_value
      - .offset:         40
        .size:           1
        .value_kind:     by_value
      - .offset:         48
        .size:           4
        .value_kind:     hidden_block_count_x
      - .offset:         52
        .size:           4
        .value_kind:     hidden_block_count_y
      - .offset:         56
        .size:           4
        .value_kind:     hidden_block_count_z
      - .offset:         60
        .size:           2
        .value_kind:     hidden_group_size_x
      - .offset:         62
        .size:           2
        .value_kind:     hidden_group_size_y
      - .offset:         64
        .size:           2
        .value_kind:     hidden_group_size_z
      - .offset:         66
        .size:           2
        .value_kind:     hidden_remainder_x
      - .offset:         68
        .size:           2
        .value_kind:     hidden_remainder_y
      - .offset:         70
        .size:           2
        .value_kind:     hidden_remainder_z
      - .offset:         88
        .size:           8
        .value_kind:     hidden_global_offset_x
      - .offset:         96
        .size:           8
        .value_kind:     hidden_global_offset_y
      - .offset:         104
        .size:           8
        .value_kind:     hidden_global_offset_z
      - .offset:         112
        .size:           2
        .value_kind:     hidden_grid_dims
    .group_segment_fixed_size: 0
    .kernarg_segment_align: 8
    .kernarg_segment_size: 304
    .language:       OpenCL C
    .language_version:
      - 2
      - 0
    .max_flat_workgroup_size: 1024
    .name:           _Z20thread_search_kernelImjN7rocprim17ROCPRIM_304000_NS7greaterImEETnT0_Lj4EEvPT_S6_PS4_S7_S4_S4_T1_
    .private_segment_fixed_size: 0
    .sgpr_count:     18
    .sgpr_spill_count: 0
    .symbol:         _Z20thread_search_kernelImjN7rocprim17ROCPRIM_304000_NS7greaterImEETnT0_Lj4EEvPT_S6_PS4_S7_S4_S4_T1_.kd
    .uniform_work_group_size: 1
    .uses_dynamic_stack: false
    .vgpr_count:     10
    .vgpr_spill_count: 0
    .wavefront_size: 32
    .workgroup_processor_mode: 1
  - .args:
      - .address_space:  global
        .offset:         0
        .size:           8
        .value_kind:     global_buffer
      - .address_space:  global
        .offset:         8
        .size:           8
        .value_kind:     global_buffer
      - .address_space:  global
        .offset:         16
        .size:           8
        .value_kind:     global_buffer
      - .address_space:  global
        .offset:         24
        .size:           8
        .value_kind:     global_buffer
      - .offset:         32
        .size:           4
        .value_kind:     by_value
      - .offset:         36
        .size:           4
        .value_kind:     by_value
      - .offset:         40
        .size:           1
        .value_kind:     by_value
    .group_segment_fixed_size: 0
    .kernarg_segment_align: 8
    .kernarg_segment_size: 44
    .language:       OpenCL C
    .language_version:
      - 2
      - 0
    .max_flat_workgroup_size: 1024
    .name:           _Z34thread_search_out_of_bounds_kernelImjN7rocprim17ROCPRIM_304000_NS7greaterImEEEvPT_S5_PT0_S7_S6_S6_T1_
    .private_segment_fixed_size: 0
    .sgpr_count:     22
    .sgpr_spill_count: 0
    .symbol:         _Z34thread_search_out_of_bounds_kernelImjN7rocprim17ROCPRIM_304000_NS7greaterImEEEvPT_S5_PT0_S7_S6_S6_T1_.kd
    .uniform_work_group_size: 1
    .uses_dynamic_stack: false
    .vgpr_count:     3
    .vgpr_spill_count: 0
    .wavefront_size: 32
    .workgroup_processor_mode: 1
  - .args:
      - .address_space:  global
        .offset:         0
        .size:           8
        .value_kind:     global_buffer
      - .address_space:  global
        .offset:         8
        .size:           8
        .value_kind:     global_buffer
      - .address_space:  global
        .offset:         16
        .size:           8
        .value_kind:     global_buffer
      - .address_space:  global
        .offset:         24
        .size:           8
        .value_kind:     global_buffer
      - .offset:         32
        .size:           4
        .value_kind:     by_value
      - .offset:         36
        .size:           4
        .value_kind:     by_value
      - .offset:         40
        .size:           1
        .value_kind:     by_value
      - .offset:         48
        .size:           4
        .value_kind:     hidden_block_count_x
      - .offset:         52
        .size:           4
        .value_kind:     hidden_block_count_y
      - .offset:         56
        .size:           4
        .value_kind:     hidden_block_count_z
      - .offset:         60
        .size:           2
        .value_kind:     hidden_group_size_x
      - .offset:         62
        .size:           2
        .value_kind:     hidden_group_size_y
      - .offset:         64
        .size:           2
        .value_kind:     hidden_group_size_z
      - .offset:         66
        .size:           2
        .value_kind:     hidden_remainder_x
      - .offset:         68
        .size:           2
        .value_kind:     hidden_remainder_y
      - .offset:         70
        .size:           2
        .value_kind:     hidden_remainder_z
      - .offset:         88
        .size:           8
        .value_kind:     hidden_global_offset_x
      - .offset:         96
        .size:           8
        .value_kind:     hidden_global_offset_y
      - .offset:         104
        .size:           8
        .value_kind:     hidden_global_offset_z
      - .offset:         112
        .size:           2
        .value_kind:     hidden_grid_dims
    .group_segment_fixed_size: 0
    .kernarg_segment_align: 8
    .kernarg_segment_size: 304
    .language:       OpenCL C
    .language_version:
      - 2
      - 0
    .max_flat_workgroup_size: 1024
    .name:           _Z20thread_search_kernelIjjN7rocprim17ROCPRIM_304000_NS4lessIjEETnT0_Lj4EEvPT_S6_PS4_S7_S4_S4_T1_
    .private_segment_fixed_size: 0
    .sgpr_count:     18
    .sgpr_spill_count: 0
    .symbol:         _Z20thread_search_kernelIjjN7rocprim17ROCPRIM_304000_NS4lessIjEETnT0_Lj4EEvPT_S6_PS4_S7_S4_S4_T1_.kd
    .uniform_work_group_size: 1
    .uses_dynamic_stack: false
    .vgpr_count:     10
    .vgpr_spill_count: 0
    .wavefront_size: 32
    .workgroup_processor_mode: 1
  - .args:
      - .address_space:  global
        .offset:         0
        .size:           8
        .value_kind:     global_buffer
      - .address_space:  global
        .offset:         8
        .size:           8
        .value_kind:     global_buffer
      - .address_space:  global
        .offset:         16
        .size:           8
        .value_kind:     global_buffer
      - .address_space:  global
        .offset:         24
        .size:           8
        .value_kind:     global_buffer
      - .offset:         32
        .size:           4
        .value_kind:     by_value
      - .offset:         36
        .size:           4
        .value_kind:     by_value
      - .offset:         40
        .size:           1
        .value_kind:     by_value
    .group_segment_fixed_size: 0
    .kernarg_segment_align: 8
    .kernarg_segment_size: 44
    .language:       OpenCL C
    .language_version:
      - 2
      - 0
    .max_flat_workgroup_size: 1024
    .name:           _Z34thread_search_out_of_bounds_kernelIjjN7rocprim17ROCPRIM_304000_NS4lessIjEEEvPT_S5_PT0_S7_S6_S6_T1_
    .private_segment_fixed_size: 0
    .sgpr_count:     22
    .sgpr_spill_count: 0
    .symbol:         _Z34thread_search_out_of_bounds_kernelIjjN7rocprim17ROCPRIM_304000_NS4lessIjEEEvPT_S5_PT0_S7_S6_S6_T1_.kd
    .uniform_work_group_size: 1
    .uses_dynamic_stack: false
    .vgpr_count:     3
    .vgpr_spill_count: 0
    .wavefront_size: 32
    .workgroup_processor_mode: 1
  - .args:
      - .address_space:  global
        .offset:         0
        .size:           8
        .value_kind:     global_buffer
      - .address_space:  global
        .offset:         8
        .size:           8
        .value_kind:     global_buffer
      - .address_space:  global
        .offset:         16
        .size:           8
        .value_kind:     global_buffer
      - .address_space:  global
        .offset:         24
        .size:           8
        .value_kind:     global_buffer
      - .offset:         32
        .size:           4
        .value_kind:     by_value
      - .offset:         36
        .size:           4
        .value_kind:     by_value
      - .offset:         40
        .size:           1
        .value_kind:     by_value
      - .offset:         48
        .size:           4
        .value_kind:     hidden_block_count_x
      - .offset:         52
        .size:           4
        .value_kind:     hidden_block_count_y
      - .offset:         56
        .size:           4
        .value_kind:     hidden_block_count_z
      - .offset:         60
        .size:           2
        .value_kind:     hidden_group_size_x
      - .offset:         62
        .size:           2
        .value_kind:     hidden_group_size_y
      - .offset:         64
        .size:           2
        .value_kind:     hidden_group_size_z
      - .offset:         66
        .size:           2
        .value_kind:     hidden_remainder_x
      - .offset:         68
        .size:           2
        .value_kind:     hidden_remainder_y
      - .offset:         70
        .size:           2
        .value_kind:     hidden_remainder_z
      - .offset:         88
        .size:           8
        .value_kind:     hidden_global_offset_x
      - .offset:         96
        .size:           8
        .value_kind:     hidden_global_offset_y
      - .offset:         104
        .size:           8
        .value_kind:     hidden_global_offset_z
      - .offset:         112
        .size:           2
        .value_kind:     hidden_grid_dims
    .group_segment_fixed_size: 0
    .kernarg_segment_align: 8
    .kernarg_segment_size: 304
    .language:       OpenCL C
    .language_version:
      - 2
      - 0
    .max_flat_workgroup_size: 1024
    .name:           _Z20thread_search_kernelIjjN7rocprim17ROCPRIM_304000_NS7greaterIjEETnT0_Lj4EEvPT_S6_PS4_S7_S4_S4_T1_
    .private_segment_fixed_size: 0
    .sgpr_count:     18
    .sgpr_spill_count: 0
    .symbol:         _Z20thread_search_kernelIjjN7rocprim17ROCPRIM_304000_NS7greaterIjEETnT0_Lj4EEvPT_S6_PS4_S7_S4_S4_T1_.kd
    .uniform_work_group_size: 1
    .uses_dynamic_stack: false
    .vgpr_count:     10
    .vgpr_spill_count: 0
    .wavefront_size: 32
    .workgroup_processor_mode: 1
  - .args:
      - .address_space:  global
        .offset:         0
        .size:           8
        .value_kind:     global_buffer
      - .address_space:  global
        .offset:         8
        .size:           8
        .value_kind:     global_buffer
      - .address_space:  global
        .offset:         16
        .size:           8
        .value_kind:     global_buffer
      - .address_space:  global
        .offset:         24
        .size:           8
        .value_kind:     global_buffer
      - .offset:         32
        .size:           4
        .value_kind:     by_value
      - .offset:         36
        .size:           4
        .value_kind:     by_value
      - .offset:         40
        .size:           1
        .value_kind:     by_value
    .group_segment_fixed_size: 0
    .kernarg_segment_align: 8
    .kernarg_segment_size: 44
    .language:       OpenCL C
    .language_version:
      - 2
      - 0
    .max_flat_workgroup_size: 1024
    .name:           _Z34thread_search_out_of_bounds_kernelIjjN7rocprim17ROCPRIM_304000_NS7greaterIjEEEvPT_S5_PT0_S7_S6_S6_T1_
    .private_segment_fixed_size: 0
    .sgpr_count:     22
    .sgpr_spill_count: 0
    .symbol:         _Z34thread_search_out_of_bounds_kernelIjjN7rocprim17ROCPRIM_304000_NS7greaterIjEEEvPT_S5_PT0_S7_S6_S6_T1_.kd
    .uniform_work_group_size: 1
    .uses_dynamic_stack: false
    .vgpr_count:     3
    .vgpr_spill_count: 0
    .wavefront_size: 32
    .workgroup_processor_mode: 1
  - .args:
      - .address_space:  global
        .offset:         0
        .size:           8
        .value_kind:     global_buffer
      - .address_space:  global
        .offset:         8
        .size:           8
        .value_kind:     global_buffer
      - .address_space:  global
        .offset:         16
        .size:           8
        .value_kind:     global_buffer
      - .address_space:  global
        .offset:         24
        .size:           8
        .value_kind:     global_buffer
      - .offset:         32
        .size:           4
        .value_kind:     by_value
      - .offset:         36
        .size:           4
        .value_kind:     by_value
      - .offset:         40
        .size:           1
        .value_kind:     by_value
      - .offset:         48
        .size:           4
        .value_kind:     hidden_block_count_x
      - .offset:         52
        .size:           4
        .value_kind:     hidden_block_count_y
      - .offset:         56
        .size:           4
        .value_kind:     hidden_block_count_z
      - .offset:         60
        .size:           2
        .value_kind:     hidden_group_size_x
      - .offset:         62
        .size:           2
        .value_kind:     hidden_group_size_y
      - .offset:         64
        .size:           2
        .value_kind:     hidden_group_size_z
      - .offset:         66
        .size:           2
        .value_kind:     hidden_remainder_x
      - .offset:         68
        .size:           2
        .value_kind:     hidden_remainder_y
      - .offset:         70
        .size:           2
        .value_kind:     hidden_remainder_z
      - .offset:         88
        .size:           8
        .value_kind:     hidden_global_offset_x
      - .offset:         96
        .size:           8
        .value_kind:     hidden_global_offset_y
      - .offset:         104
        .size:           8
        .value_kind:     hidden_global_offset_z
      - .offset:         112
        .size:           2
        .value_kind:     hidden_grid_dims
    .group_segment_fixed_size: 0
    .kernarg_segment_align: 8
    .kernarg_segment_size: 304
    .language:       OpenCL C
    .language_version:
      - 2
      - 0
    .max_flat_workgroup_size: 1024
    .name:           _Z20thread_search_kernelItjN7rocprim17ROCPRIM_304000_NS4lessItEETnT0_Lj4EEvPT_S6_PS4_S7_S4_S4_T1_
    .private_segment_fixed_size: 0
    .sgpr_count:     18
    .sgpr_spill_count: 0
    .symbol:         _Z20thread_search_kernelItjN7rocprim17ROCPRIM_304000_NS4lessItEETnT0_Lj4EEvPT_S6_PS4_S7_S4_S4_T1_.kd
    .uniform_work_group_size: 1
    .uses_dynamic_stack: false
    .vgpr_count:     10
    .vgpr_spill_count: 0
    .wavefront_size: 32
    .workgroup_processor_mode: 1
  - .args:
      - .address_space:  global
        .offset:         0
        .size:           8
        .value_kind:     global_buffer
      - .address_space:  global
        .offset:         8
        .size:           8
        .value_kind:     global_buffer
      - .address_space:  global
        .offset:         16
        .size:           8
        .value_kind:     global_buffer
      - .address_space:  global
        .offset:         24
        .size:           8
        .value_kind:     global_buffer
      - .offset:         32
        .size:           4
        .value_kind:     by_value
      - .offset:         36
        .size:           4
        .value_kind:     by_value
      - .offset:         40
        .size:           1
        .value_kind:     by_value
    .group_segment_fixed_size: 0
    .kernarg_segment_align: 8
    .kernarg_segment_size: 44
    .language:       OpenCL C
    .language_version:
      - 2
      - 0
    .max_flat_workgroup_size: 1024
    .name:           _Z34thread_search_out_of_bounds_kernelItjN7rocprim17ROCPRIM_304000_NS4lessItEEEvPT_S5_PT0_S7_S6_S6_T1_
    .private_segment_fixed_size: 0
    .sgpr_count:     20
    .sgpr_spill_count: 0
    .symbol:         _Z34thread_search_out_of_bounds_kernelItjN7rocprim17ROCPRIM_304000_NS4lessItEEEvPT_S5_PT0_S7_S6_S6_T1_.kd
    .uniform_work_group_size: 1
    .uses_dynamic_stack: false
    .vgpr_count:     3
    .vgpr_spill_count: 0
    .wavefront_size: 32
    .workgroup_processor_mode: 1
  - .args:
      - .address_space:  global
        .offset:         0
        .size:           8
        .value_kind:     global_buffer
      - .address_space:  global
        .offset:         8
        .size:           8
        .value_kind:     global_buffer
      - .address_space:  global
        .offset:         16
        .size:           8
        .value_kind:     global_buffer
      - .address_space:  global
        .offset:         24
        .size:           8
        .value_kind:     global_buffer
      - .offset:         32
        .size:           4
        .value_kind:     by_value
      - .offset:         36
        .size:           4
        .value_kind:     by_value
      - .offset:         40
        .size:           1
        .value_kind:     by_value
      - .offset:         48
        .size:           4
        .value_kind:     hidden_block_count_x
      - .offset:         52
        .size:           4
        .value_kind:     hidden_block_count_y
      - .offset:         56
        .size:           4
        .value_kind:     hidden_block_count_z
      - .offset:         60
        .size:           2
        .value_kind:     hidden_group_size_x
      - .offset:         62
        .size:           2
        .value_kind:     hidden_group_size_y
      - .offset:         64
        .size:           2
        .value_kind:     hidden_group_size_z
      - .offset:         66
        .size:           2
        .value_kind:     hidden_remainder_x
      - .offset:         68
        .size:           2
        .value_kind:     hidden_remainder_y
      - .offset:         70
        .size:           2
        .value_kind:     hidden_remainder_z
      - .offset:         88
        .size:           8
        .value_kind:     hidden_global_offset_x
      - .offset:         96
        .size:           8
        .value_kind:     hidden_global_offset_y
      - .offset:         104
        .size:           8
        .value_kind:     hidden_global_offset_z
      - .offset:         112
        .size:           2
        .value_kind:     hidden_grid_dims
    .group_segment_fixed_size: 0
    .kernarg_segment_align: 8
    .kernarg_segment_size: 304
    .language:       OpenCL C
    .language_version:
      - 2
      - 0
    .max_flat_workgroup_size: 1024
    .name:           _Z20thread_search_kernelItjN7rocprim17ROCPRIM_304000_NS7greaterItEETnT0_Lj4EEvPT_S6_PS4_S7_S4_S4_T1_
    .private_segment_fixed_size: 0
    .sgpr_count:     18
    .sgpr_spill_count: 0
    .symbol:         _Z20thread_search_kernelItjN7rocprim17ROCPRIM_304000_NS7greaterItEETnT0_Lj4EEvPT_S6_PS4_S7_S4_S4_T1_.kd
    .uniform_work_group_size: 1
    .uses_dynamic_stack: false
    .vgpr_count:     10
    .vgpr_spill_count: 0
    .wavefront_size: 32
    .workgroup_processor_mode: 1
  - .args:
      - .address_space:  global
        .offset:         0
        .size:           8
        .value_kind:     global_buffer
      - .address_space:  global
        .offset:         8
        .size:           8
        .value_kind:     global_buffer
      - .address_space:  global
        .offset:         16
        .size:           8
        .value_kind:     global_buffer
      - .address_space:  global
        .offset:         24
        .size:           8
        .value_kind:     global_buffer
      - .offset:         32
        .size:           4
        .value_kind:     by_value
      - .offset:         36
        .size:           4
        .value_kind:     by_value
      - .offset:         40
        .size:           1
        .value_kind:     by_value
    .group_segment_fixed_size: 0
    .kernarg_segment_align: 8
    .kernarg_segment_size: 44
    .language:       OpenCL C
    .language_version:
      - 2
      - 0
    .max_flat_workgroup_size: 1024
    .name:           _Z34thread_search_out_of_bounds_kernelItjN7rocprim17ROCPRIM_304000_NS7greaterItEEEvPT_S5_PT0_S7_S6_S6_T1_
    .private_segment_fixed_size: 0
    .sgpr_count:     20
    .sgpr_spill_count: 0
    .symbol:         _Z34thread_search_out_of_bounds_kernelItjN7rocprim17ROCPRIM_304000_NS7greaterItEEEvPT_S5_PT0_S7_S6_S6_T1_.kd
    .uniform_work_group_size: 1
    .uses_dynamic_stack: false
    .vgpr_count:     3
    .vgpr_spill_count: 0
    .wavefront_size: 32
    .workgroup_processor_mode: 1
  - .args:
      - .address_space:  global
        .offset:         0
        .size:           8
        .value_kind:     global_buffer
      - .address_space:  global
        .offset:         8
        .size:           8
        .value_kind:     global_buffer
      - .address_space:  global
        .offset:         16
        .size:           8
        .value_kind:     global_buffer
      - .address_space:  global
        .offset:         24
        .size:           8
        .value_kind:     global_buffer
      - .offset:         32
        .size:           4
        .value_kind:     by_value
      - .offset:         36
        .size:           4
        .value_kind:     by_value
      - .offset:         40
        .size:           1
        .value_kind:     by_value
      - .offset:         48
        .size:           4
        .value_kind:     hidden_block_count_x
      - .offset:         52
        .size:           4
        .value_kind:     hidden_block_count_y
      - .offset:         56
        .size:           4
        .value_kind:     hidden_block_count_z
      - .offset:         60
        .size:           2
        .value_kind:     hidden_group_size_x
      - .offset:         62
        .size:           2
        .value_kind:     hidden_group_size_y
      - .offset:         64
        .size:           2
        .value_kind:     hidden_group_size_z
      - .offset:         66
        .size:           2
        .value_kind:     hidden_remainder_x
      - .offset:         68
        .size:           2
        .value_kind:     hidden_remainder_y
      - .offset:         70
        .size:           2
        .value_kind:     hidden_remainder_z
      - .offset:         88
        .size:           8
        .value_kind:     hidden_global_offset_x
      - .offset:         96
        .size:           8
        .value_kind:     hidden_global_offset_y
      - .offset:         104
        .size:           8
        .value_kind:     hidden_global_offset_z
      - .offset:         112
        .size:           2
        .value_kind:     hidden_grid_dims
    .group_segment_fixed_size: 0
    .kernarg_segment_align: 8
    .kernarg_segment_size: 304
    .language:       OpenCL C
    .language_version:
      - 2
      - 0
    .max_flat_workgroup_size: 1024
    .name:           _Z20thread_search_kernelIhjN7rocprim17ROCPRIM_304000_NS4lessIhEETnT0_Lj4EEvPT_S6_PS4_S7_S4_S4_T1_
    .private_segment_fixed_size: 0
    .sgpr_count:     18
    .sgpr_spill_count: 0
    .symbol:         _Z20thread_search_kernelIhjN7rocprim17ROCPRIM_304000_NS4lessIhEETnT0_Lj4EEvPT_S6_PS4_S7_S4_S4_T1_.kd
    .uniform_work_group_size: 1
    .uses_dynamic_stack: false
    .vgpr_count:     8
    .vgpr_spill_count: 0
    .wavefront_size: 32
    .workgroup_processor_mode: 1
  - .args:
      - .address_space:  global
        .offset:         0
        .size:           8
        .value_kind:     global_buffer
      - .address_space:  global
        .offset:         8
        .size:           8
        .value_kind:     global_buffer
      - .address_space:  global
        .offset:         16
        .size:           8
        .value_kind:     global_buffer
      - .address_space:  global
        .offset:         24
        .size:           8
        .value_kind:     global_buffer
      - .offset:         32
        .size:           4
        .value_kind:     by_value
      - .offset:         36
        .size:           4
        .value_kind:     by_value
      - .offset:         40
        .size:           1
        .value_kind:     by_value
    .group_segment_fixed_size: 0
    .kernarg_segment_align: 8
    .kernarg_segment_size: 44
    .language:       OpenCL C
    .language_version:
      - 2
      - 0
    .max_flat_workgroup_size: 1024
    .name:           _Z34thread_search_out_of_bounds_kernelIhjN7rocprim17ROCPRIM_304000_NS4lessIhEEEvPT_S5_PT0_S7_S6_S6_T1_
    .private_segment_fixed_size: 0
    .sgpr_count:     19
    .sgpr_spill_count: 0
    .symbol:         _Z34thread_search_out_of_bounds_kernelIhjN7rocprim17ROCPRIM_304000_NS4lessIhEEEvPT_S5_PT0_S7_S6_S6_T1_.kd
    .uniform_work_group_size: 1
    .uses_dynamic_stack: false
    .vgpr_count:     3
    .vgpr_spill_count: 0
    .wavefront_size: 32
    .workgroup_processor_mode: 1
  - .args:
      - .address_space:  global
        .offset:         0
        .size:           8
        .value_kind:     global_buffer
      - .address_space:  global
        .offset:         8
        .size:           8
        .value_kind:     global_buffer
      - .address_space:  global
        .offset:         16
        .size:           8
        .value_kind:     global_buffer
      - .address_space:  global
        .offset:         24
        .size:           8
        .value_kind:     global_buffer
      - .offset:         32
        .size:           4
        .value_kind:     by_value
      - .offset:         36
        .size:           4
        .value_kind:     by_value
      - .offset:         40
        .size:           1
        .value_kind:     by_value
      - .offset:         48
        .size:           4
        .value_kind:     hidden_block_count_x
      - .offset:         52
        .size:           4
        .value_kind:     hidden_block_count_y
      - .offset:         56
        .size:           4
        .value_kind:     hidden_block_count_z
      - .offset:         60
        .size:           2
        .value_kind:     hidden_group_size_x
      - .offset:         62
        .size:           2
        .value_kind:     hidden_group_size_y
      - .offset:         64
        .size:           2
        .value_kind:     hidden_group_size_z
      - .offset:         66
        .size:           2
        .value_kind:     hidden_remainder_x
      - .offset:         68
        .size:           2
        .value_kind:     hidden_remainder_y
      - .offset:         70
        .size:           2
        .value_kind:     hidden_remainder_z
      - .offset:         88
        .size:           8
        .value_kind:     hidden_global_offset_x
      - .offset:         96
        .size:           8
        .value_kind:     hidden_global_offset_y
      - .offset:         104
        .size:           8
        .value_kind:     hidden_global_offset_z
      - .offset:         112
        .size:           2
        .value_kind:     hidden_grid_dims
    .group_segment_fixed_size: 0
    .kernarg_segment_align: 8
    .kernarg_segment_size: 304
    .language:       OpenCL C
    .language_version:
      - 2
      - 0
    .max_flat_workgroup_size: 1024
    .name:           _Z20thread_search_kernelIhjN7rocprim17ROCPRIM_304000_NS7greaterIhEETnT0_Lj4EEvPT_S6_PS4_S7_S4_S4_T1_
    .private_segment_fixed_size: 0
    .sgpr_count:     18
    .sgpr_spill_count: 0
    .symbol:         _Z20thread_search_kernelIhjN7rocprim17ROCPRIM_304000_NS7greaterIhEETnT0_Lj4EEvPT_S6_PS4_S7_S4_S4_T1_.kd
    .uniform_work_group_size: 1
    .uses_dynamic_stack: false
    .vgpr_count:     8
    .vgpr_spill_count: 0
    .wavefront_size: 32
    .workgroup_processor_mode: 1
  - .args:
      - .address_space:  global
        .offset:         0
        .size:           8
        .value_kind:     global_buffer
      - .address_space:  global
        .offset:         8
        .size:           8
        .value_kind:     global_buffer
      - .address_space:  global
        .offset:         16
        .size:           8
        .value_kind:     global_buffer
      - .address_space:  global
        .offset:         24
        .size:           8
        .value_kind:     global_buffer
      - .offset:         32
        .size:           4
        .value_kind:     by_value
      - .offset:         36
        .size:           4
        .value_kind:     by_value
      - .offset:         40
        .size:           1
        .value_kind:     by_value
    .group_segment_fixed_size: 0
    .kernarg_segment_align: 8
    .kernarg_segment_size: 44
    .language:       OpenCL C
    .language_version:
      - 2
      - 0
    .max_flat_workgroup_size: 1024
    .name:           _Z34thread_search_out_of_bounds_kernelIhjN7rocprim17ROCPRIM_304000_NS7greaterIhEEEvPT_S5_PT0_S7_S6_S6_T1_
    .private_segment_fixed_size: 0
    .sgpr_count:     19
    .sgpr_spill_count: 0
    .symbol:         _Z34thread_search_out_of_bounds_kernelIhjN7rocprim17ROCPRIM_304000_NS7greaterIhEEEvPT_S5_PT0_S7_S6_S6_T1_.kd
    .uniform_work_group_size: 1
    .uses_dynamic_stack: false
    .vgpr_count:     3
    .vgpr_spill_count: 0
    .wavefront_size: 32
    .workgroup_processor_mode: 1
amdhsa.target:   amdgcn-amd-amdhsa--gfx1100
amdhsa.version:
  - 1
  - 2
...

	.end_amdgpu_metadata
